;; amdgpu-corpus repo=ROCm/composable_kernel kind=compiled arch=gfx950 opt=O3
	.amdgcn_target "amdgcn-amd-amdhsa--gfx950"
	.amdhsa_code_object_version 6
	.section	.text._ZN2ckL12flush_icacheEv,"axG",@progbits,_ZN2ckL12flush_icacheEv,comdat
	.globl	_ZN2ckL12flush_icacheEv         ; -- Begin function _ZN2ckL12flush_icacheEv
	.p2align	8
	.type	_ZN2ckL12flush_icacheEv,@function
_ZN2ckL12flush_icacheEv:                ; @_ZN2ckL12flush_icacheEv
; %bb.0:
	;;#ASMSTART
	s_icache_inv 
	s_nop 0 
	s_nop 0 
	;; [unrolled: 1-line block ×16, first 2 shown]
	
	;;#ASMEND
	s_endpgm
	.section	.rodata,"a",@progbits
	.p2align	6, 0x0
	.amdhsa_kernel _ZN2ckL12flush_icacheEv
		.amdhsa_group_segment_fixed_size 0
		.amdhsa_private_segment_fixed_size 0
		.amdhsa_kernarg_size 0
		.amdhsa_user_sgpr_count 0
		.amdhsa_user_sgpr_dispatch_ptr 0
		.amdhsa_user_sgpr_queue_ptr 0
		.amdhsa_user_sgpr_kernarg_segment_ptr 0
		.amdhsa_user_sgpr_dispatch_id 0
		.amdhsa_user_sgpr_kernarg_preload_length 0
		.amdhsa_user_sgpr_kernarg_preload_offset 0
		.amdhsa_user_sgpr_private_segment_size 0
		.amdhsa_uses_dynamic_stack 0
		.amdhsa_enable_private_segment 0
		.amdhsa_system_sgpr_workgroup_id_x 1
		.amdhsa_system_sgpr_workgroup_id_y 0
		.amdhsa_system_sgpr_workgroup_id_z 0
		.amdhsa_system_sgpr_workgroup_info 0
		.amdhsa_system_vgpr_workitem_id 0
		.amdhsa_next_free_vgpr 1
		.amdhsa_next_free_sgpr 0
		.amdhsa_accum_offset 4
		.amdhsa_reserve_vcc 0
		.amdhsa_float_round_mode_32 0
		.amdhsa_float_round_mode_16_64 0
		.amdhsa_float_denorm_mode_32 3
		.amdhsa_float_denorm_mode_16_64 3
		.amdhsa_dx10_clamp 1
		.amdhsa_ieee_mode 1
		.amdhsa_fp16_overflow 0
		.amdhsa_tg_split 0
		.amdhsa_exception_fp_ieee_invalid_op 0
		.amdhsa_exception_fp_denorm_src 0
		.amdhsa_exception_fp_ieee_div_zero 0
		.amdhsa_exception_fp_ieee_overflow 0
		.amdhsa_exception_fp_ieee_underflow 0
		.amdhsa_exception_fp_ieee_inexact 0
		.amdhsa_exception_int_div_zero 0
	.end_amdhsa_kernel
	.section	.text._ZN2ckL12flush_icacheEv,"axG",@progbits,_ZN2ckL12flush_icacheEv,comdat
.Lfunc_end0:
	.size	_ZN2ckL12flush_icacheEv, .Lfunc_end0-_ZN2ckL12flush_icacheEv
                                        ; -- End function
	.set _ZN2ckL12flush_icacheEv.num_vgpr, 0
	.set _ZN2ckL12flush_icacheEv.num_agpr, 0
	.set _ZN2ckL12flush_icacheEv.numbered_sgpr, 0
	.set _ZN2ckL12flush_icacheEv.num_named_barrier, 0
	.set _ZN2ckL12flush_icacheEv.private_seg_size, 0
	.set _ZN2ckL12flush_icacheEv.uses_vcc, 0
	.set _ZN2ckL12flush_icacheEv.uses_flat_scratch, 0
	.set _ZN2ckL12flush_icacheEv.has_dyn_sized_stack, 0
	.set _ZN2ckL12flush_icacheEv.has_recursion, 0
	.set _ZN2ckL12flush_icacheEv.has_indirect_call, 0
	.section	.AMDGPU.csdata,"",@progbits
; Kernel info:
; codeLenInByte = 276
; TotalNumSgprs: 6
; NumVgprs: 0
; NumAgprs: 0
; TotalNumVgprs: 0
; ScratchSize: 0
; MemoryBound: 0
; FloatMode: 240
; IeeeMode: 1
; LDSByteSize: 0 bytes/workgroup (compile time only)
; SGPRBlocks: 0
; VGPRBlocks: 0
; NumSGPRsForWavesPerEU: 6
; NumVGPRsForWavesPerEU: 1
; AccumOffset: 4
; Occupancy: 8
; WaveLimiterHint : 0
; COMPUTE_PGM_RSRC2:SCRATCH_EN: 0
; COMPUTE_PGM_RSRC2:USER_SGPR: 0
; COMPUTE_PGM_RSRC2:TRAP_HANDLER: 0
; COMPUTE_PGM_RSRC2:TGID_X_EN: 1
; COMPUTE_PGM_RSRC2:TGID_Y_EN: 0
; COMPUTE_PGM_RSRC2:TGID_Z_EN: 0
; COMPUTE_PGM_RSRC2:TIDIG_COMP_CNT: 0
; COMPUTE_PGM_RSRC3_GFX90A:ACCUM_OFFSET: 0
; COMPUTE_PGM_RSRC3_GFX90A:TG_SPLIT: 0
	.section	.text._ZN2ck16tensor_operation6device12_GLOBAL__N_137kernel_grouped_conv_fwd_dl_multiple_dINS_32GridwiseGemmDlMultipleD_km_kn_mnILi256EDF16_fNS_5TupleIJDF16_EEEDF16_NS0_12element_wise11PassThroughES8_NS7_7AddReluELNS_25InMemoryDataOperationEnumE0ENS_16TensorDescriptorINS5_IJNS_5EmbedINS5_IJiiiEEESD_Lb0EEENS_11PassThroughIiEENS_3PadIiiiLb0EEESG_SG_NSC_INS5_IJiiEEESJ_Lb0EEESG_NS_23Merge_v2_magic_divisionISJ_EESM_NS_8RightPadIiiLb0EEESO_NS_7UnMergeISJ_Lb0EEESG_EEENS5_IJNS_8SequenceIJLi0EEEENSS_IJLi1EEEENSS_IJLi2EEEENSS_IJLi3EEEENSS_IJLi4EEEENSS_IJLi5EEEENSS_IJLi6EEEENSS_IJLi7ELi9EEEENSS_IJLi8ELi10EEEENSS_IJLi11EEEENSS_IJLi12EEEENSS_IJLi14EEEENSS_IJLi13EEEEEEENS5_IJNSS_IJLi1ELi2ELi3EEEESX_SY_SZ_NSS_IJLi7EEEENSS_IJLi8ELi9EEEENSS_IJLi10EEEES12_S13_S15_S14_NSS_IJLi15ELi16EEEENSS_IJLi17EEEEEEENSS_IJLi15ELi17ELi16EEEElEENSB_INS5_IJSQ_SO_SO_SQ_SG_EEENS5_IJST_SU_SV_SX_SW_EEENS5_IJNSS_IJLi1ELi2EEEESW_SX_NSS_IJLi5ELi6EEEES18_EEENSS_IJLi5ELi7ELi6EEEElEENSB_INS5_IJSK_SO_SO_EEENS5_IJST_SU_SV_EEENS5_IJS1I_SW_SX_EEENSS_IJLi3ELi4EEEElEELi128ELi128ELi16ELi2ELi4ELi4ELi1ENSS_IJLi8ELi2EEEES1S_NSS_IJLi8ELi1ELi1ELi2EEEENSS_IJLi2ELi1ELi128ELi1EEEENSS_IJLi1ELi2ELi0ELi3EEEES1V_NSS_IJLi4ELi1ELi1ELi2EEEES1V_NSS_IJLi1ELi1ELi1ELi2EEEES1T_S1U_S1V_S1V_S1W_S1V_S1X_NSS_IJLi0ELi1ELi2ELi3ELi4ELi5EEEELi5ELi4EEEDF16_NS5_IJPKDF16_EEEDF16_S8_S8_S9_NSB_INS5_IJSE_SG_SI_SG_SG_SK_SG_SM_SM_SO_SO_SQ_SG_SG_NSP_INS5_IJiNS_17integral_constantIiLi128EEEEEELb0EEENSF_INS23_IiLi2EEEEEEEENS5_IJST_SU_SV_SW_SX_SY_SZ_S10_S11_S12_S13_S14_S15_NSS_IJLi15EEEES1C_NSS_IJLi16EEEEEEENS5_IJS17_SX_SY_SZ_S18_S19_S1A_S12_S13_S15_S14_S1B_S1C_NSS_IJLi18EEEENSS_IJLi19ELi20EEEENSS_IJLi21EEEEEEENSS_IJLi18ELi19ELi20ELi21EEEElEENSB_INS5_IJSQ_SO_SO_SQ_SG_SG_S26_S28_EEENS5_IJST_SU_SV_SX_SW_SY_S18_SZ_EEENS5_IJS1I_SW_SX_S1J_S18_NSS_IJLi8EEEENSS_IJLi9ELi10EEEES12_EEENSS_IJLi8ELi9ELi10ELi11EEEElEENS5_IJNSB_INS5_IJSK_SO_SO_NSP_INS5_IJiS27_NS23_IiLi64EEEEEELb0EEES2S_EEENS5_IJST_SU_SV_SW_SX_EEENS5_IJS1I_SW_SX_NSS_IJLi5ELi6ELi7EEEENSS_IJLi8ELi9ELi10EEEEEEENSS_IJLi5ELi6ELi7ELi8ELi9ELi10EEEElEEEEES2Z_NS_31BlockToCTileMap_M00_N00_M01_N01ILi128ELi128ES1R_Lb0EEENS1_30ComputePtrOffsetOfStridedBatchILi1ELi1ELi1EvEELb1ELb1EEEvPKT0_S37_T1_PT2_T3_T4_T5_iT6_T7_T8_T9_T10_T11_,"axG",@progbits,_ZN2ck16tensor_operation6device12_GLOBAL__N_137kernel_grouped_conv_fwd_dl_multiple_dINS_32GridwiseGemmDlMultipleD_km_kn_mnILi256EDF16_fNS_5TupleIJDF16_EEEDF16_NS0_12element_wise11PassThroughES8_NS7_7AddReluELNS_25InMemoryDataOperationEnumE0ENS_16TensorDescriptorINS5_IJNS_5EmbedINS5_IJiiiEEESD_Lb0EEENS_11PassThroughIiEENS_3PadIiiiLb0EEESG_SG_NSC_INS5_IJiiEEESJ_Lb0EEESG_NS_23Merge_v2_magic_divisionISJ_EESM_NS_8RightPadIiiLb0EEESO_NS_7UnMergeISJ_Lb0EEESG_EEENS5_IJNS_8SequenceIJLi0EEEENSS_IJLi1EEEENSS_IJLi2EEEENSS_IJLi3EEEENSS_IJLi4EEEENSS_IJLi5EEEENSS_IJLi6EEEENSS_IJLi7ELi9EEEENSS_IJLi8ELi10EEEENSS_IJLi11EEEENSS_IJLi12EEEENSS_IJLi14EEEENSS_IJLi13EEEEEEENS5_IJNSS_IJLi1ELi2ELi3EEEESX_SY_SZ_NSS_IJLi7EEEENSS_IJLi8ELi9EEEENSS_IJLi10EEEES12_S13_S15_S14_NSS_IJLi15ELi16EEEENSS_IJLi17EEEEEEENSS_IJLi15ELi17ELi16EEEElEENSB_INS5_IJSQ_SO_SO_SQ_SG_EEENS5_IJST_SU_SV_SX_SW_EEENS5_IJNSS_IJLi1ELi2EEEESW_SX_NSS_IJLi5ELi6EEEES18_EEENSS_IJLi5ELi7ELi6EEEElEENSB_INS5_IJSK_SO_SO_EEENS5_IJST_SU_SV_EEENS5_IJS1I_SW_SX_EEENSS_IJLi3ELi4EEEElEELi128ELi128ELi16ELi2ELi4ELi4ELi1ENSS_IJLi8ELi2EEEES1S_NSS_IJLi8ELi1ELi1ELi2EEEENSS_IJLi2ELi1ELi128ELi1EEEENSS_IJLi1ELi2ELi0ELi3EEEES1V_NSS_IJLi4ELi1ELi1ELi2EEEES1V_NSS_IJLi1ELi1ELi1ELi2EEEES1T_S1U_S1V_S1V_S1W_S1V_S1X_NSS_IJLi0ELi1ELi2ELi3ELi4ELi5EEEELi5ELi4EEEDF16_NS5_IJPKDF16_EEEDF16_S8_S8_S9_NSB_INS5_IJSE_SG_SI_SG_SG_SK_SG_SM_SM_SO_SO_SQ_SG_SG_NSP_INS5_IJiNS_17integral_constantIiLi128EEEEEELb0EEENSF_INS23_IiLi2EEEEEEEENS5_IJST_SU_SV_SW_SX_SY_SZ_S10_S11_S12_S13_S14_S15_NSS_IJLi15EEEES1C_NSS_IJLi16EEEEEEENS5_IJS17_SX_SY_SZ_S18_S19_S1A_S12_S13_S15_S14_S1B_S1C_NSS_IJLi18EEEENSS_IJLi19ELi20EEEENSS_IJLi21EEEEEEENSS_IJLi18ELi19ELi20ELi21EEEElEENSB_INS5_IJSQ_SO_SO_SQ_SG_SG_S26_S28_EEENS5_IJST_SU_SV_SX_SW_SY_S18_SZ_EEENS5_IJS1I_SW_SX_S1J_S18_NSS_IJLi8EEEENSS_IJLi9ELi10EEEES12_EEENSS_IJLi8ELi9ELi10ELi11EEEElEENS5_IJNSB_INS5_IJSK_SO_SO_NSP_INS5_IJiS27_NS23_IiLi64EEEEEELb0EEES2S_EEENS5_IJST_SU_SV_SW_SX_EEENS5_IJS1I_SW_SX_NSS_IJLi5ELi6ELi7EEEENSS_IJLi8ELi9ELi10EEEEEEENSS_IJLi5ELi6ELi7ELi8ELi9ELi10EEEElEEEEES2Z_NS_31BlockToCTileMap_M00_N00_M01_N01ILi128ELi128ES1R_Lb0EEENS1_30ComputePtrOffsetOfStridedBatchILi1ELi1ELi1EvEELb1ELb1EEEvPKT0_S37_T1_PT2_T3_T4_T5_iT6_T7_T8_T9_T10_T11_,comdat
	.globl	_ZN2ck16tensor_operation6device12_GLOBAL__N_137kernel_grouped_conv_fwd_dl_multiple_dINS_32GridwiseGemmDlMultipleD_km_kn_mnILi256EDF16_fNS_5TupleIJDF16_EEEDF16_NS0_12element_wise11PassThroughES8_NS7_7AddReluELNS_25InMemoryDataOperationEnumE0ENS_16TensorDescriptorINS5_IJNS_5EmbedINS5_IJiiiEEESD_Lb0EEENS_11PassThroughIiEENS_3PadIiiiLb0EEESG_SG_NSC_INS5_IJiiEEESJ_Lb0EEESG_NS_23Merge_v2_magic_divisionISJ_EESM_NS_8RightPadIiiLb0EEESO_NS_7UnMergeISJ_Lb0EEESG_EEENS5_IJNS_8SequenceIJLi0EEEENSS_IJLi1EEEENSS_IJLi2EEEENSS_IJLi3EEEENSS_IJLi4EEEENSS_IJLi5EEEENSS_IJLi6EEEENSS_IJLi7ELi9EEEENSS_IJLi8ELi10EEEENSS_IJLi11EEEENSS_IJLi12EEEENSS_IJLi14EEEENSS_IJLi13EEEEEEENS5_IJNSS_IJLi1ELi2ELi3EEEESX_SY_SZ_NSS_IJLi7EEEENSS_IJLi8ELi9EEEENSS_IJLi10EEEES12_S13_S15_S14_NSS_IJLi15ELi16EEEENSS_IJLi17EEEEEEENSS_IJLi15ELi17ELi16EEEElEENSB_INS5_IJSQ_SO_SO_SQ_SG_EEENS5_IJST_SU_SV_SX_SW_EEENS5_IJNSS_IJLi1ELi2EEEESW_SX_NSS_IJLi5ELi6EEEES18_EEENSS_IJLi5ELi7ELi6EEEElEENSB_INS5_IJSK_SO_SO_EEENS5_IJST_SU_SV_EEENS5_IJS1I_SW_SX_EEENSS_IJLi3ELi4EEEElEELi128ELi128ELi16ELi2ELi4ELi4ELi1ENSS_IJLi8ELi2EEEES1S_NSS_IJLi8ELi1ELi1ELi2EEEENSS_IJLi2ELi1ELi128ELi1EEEENSS_IJLi1ELi2ELi0ELi3EEEES1V_NSS_IJLi4ELi1ELi1ELi2EEEES1V_NSS_IJLi1ELi1ELi1ELi2EEEES1T_S1U_S1V_S1V_S1W_S1V_S1X_NSS_IJLi0ELi1ELi2ELi3ELi4ELi5EEEELi5ELi4EEEDF16_NS5_IJPKDF16_EEEDF16_S8_S8_S9_NSB_INS5_IJSE_SG_SI_SG_SG_SK_SG_SM_SM_SO_SO_SQ_SG_SG_NSP_INS5_IJiNS_17integral_constantIiLi128EEEEEELb0EEENSF_INS23_IiLi2EEEEEEEENS5_IJST_SU_SV_SW_SX_SY_SZ_S10_S11_S12_S13_S14_S15_NSS_IJLi15EEEES1C_NSS_IJLi16EEEEEEENS5_IJS17_SX_SY_SZ_S18_S19_S1A_S12_S13_S15_S14_S1B_S1C_NSS_IJLi18EEEENSS_IJLi19ELi20EEEENSS_IJLi21EEEEEEENSS_IJLi18ELi19ELi20ELi21EEEElEENSB_INS5_IJSQ_SO_SO_SQ_SG_SG_S26_S28_EEENS5_IJST_SU_SV_SX_SW_SY_S18_SZ_EEENS5_IJS1I_SW_SX_S1J_S18_NSS_IJLi8EEEENSS_IJLi9ELi10EEEES12_EEENSS_IJLi8ELi9ELi10ELi11EEEElEENS5_IJNSB_INS5_IJSK_SO_SO_NSP_INS5_IJiS27_NS23_IiLi64EEEEEELb0EEES2S_EEENS5_IJST_SU_SV_SW_SX_EEENS5_IJS1I_SW_SX_NSS_IJLi5ELi6ELi7EEEENSS_IJLi8ELi9ELi10EEEEEEENSS_IJLi5ELi6ELi7ELi8ELi9ELi10EEEElEEEEES2Z_NS_31BlockToCTileMap_M00_N00_M01_N01ILi128ELi128ES1R_Lb0EEENS1_30ComputePtrOffsetOfStridedBatchILi1ELi1ELi1EvEELb1ELb1EEEvPKT0_S37_T1_PT2_T3_T4_T5_iT6_T7_T8_T9_T10_T11_ ; -- Begin function _ZN2ck16tensor_operation6device12_GLOBAL__N_137kernel_grouped_conv_fwd_dl_multiple_dINS_32GridwiseGemmDlMultipleD_km_kn_mnILi256EDF16_fNS_5TupleIJDF16_EEEDF16_NS0_12element_wise11PassThroughES8_NS7_7AddReluELNS_25InMemoryDataOperationEnumE0ENS_16TensorDescriptorINS5_IJNS_5EmbedINS5_IJiiiEEESD_Lb0EEENS_11PassThroughIiEENS_3PadIiiiLb0EEESG_SG_NSC_INS5_IJiiEEESJ_Lb0EEESG_NS_23Merge_v2_magic_divisionISJ_EESM_NS_8RightPadIiiLb0EEESO_NS_7UnMergeISJ_Lb0EEESG_EEENS5_IJNS_8SequenceIJLi0EEEENSS_IJLi1EEEENSS_IJLi2EEEENSS_IJLi3EEEENSS_IJLi4EEEENSS_IJLi5EEEENSS_IJLi6EEEENSS_IJLi7ELi9EEEENSS_IJLi8ELi10EEEENSS_IJLi11EEEENSS_IJLi12EEEENSS_IJLi14EEEENSS_IJLi13EEEEEEENS5_IJNSS_IJLi1ELi2ELi3EEEESX_SY_SZ_NSS_IJLi7EEEENSS_IJLi8ELi9EEEENSS_IJLi10EEEES12_S13_S15_S14_NSS_IJLi15ELi16EEEENSS_IJLi17EEEEEEENSS_IJLi15ELi17ELi16EEEElEENSB_INS5_IJSQ_SO_SO_SQ_SG_EEENS5_IJST_SU_SV_SX_SW_EEENS5_IJNSS_IJLi1ELi2EEEESW_SX_NSS_IJLi5ELi6EEEES18_EEENSS_IJLi5ELi7ELi6EEEElEENSB_INS5_IJSK_SO_SO_EEENS5_IJST_SU_SV_EEENS5_IJS1I_SW_SX_EEENSS_IJLi3ELi4EEEElEELi128ELi128ELi16ELi2ELi4ELi4ELi1ENSS_IJLi8ELi2EEEES1S_NSS_IJLi8ELi1ELi1ELi2EEEENSS_IJLi2ELi1ELi128ELi1EEEENSS_IJLi1ELi2ELi0ELi3EEEES1V_NSS_IJLi4ELi1ELi1ELi2EEEES1V_NSS_IJLi1ELi1ELi1ELi2EEEES1T_S1U_S1V_S1V_S1W_S1V_S1X_NSS_IJLi0ELi1ELi2ELi3ELi4ELi5EEEELi5ELi4EEEDF16_NS5_IJPKDF16_EEEDF16_S8_S8_S9_NSB_INS5_IJSE_SG_SI_SG_SG_SK_SG_SM_SM_SO_SO_SQ_SG_SG_NSP_INS5_IJiNS_17integral_constantIiLi128EEEEEELb0EEENSF_INS23_IiLi2EEEEEEEENS5_IJST_SU_SV_SW_SX_SY_SZ_S10_S11_S12_S13_S14_S15_NSS_IJLi15EEEES1C_NSS_IJLi16EEEEEEENS5_IJS17_SX_SY_SZ_S18_S19_S1A_S12_S13_S15_S14_S1B_S1C_NSS_IJLi18EEEENSS_IJLi19ELi20EEEENSS_IJLi21EEEEEEENSS_IJLi18ELi19ELi20ELi21EEEElEENSB_INS5_IJSQ_SO_SO_SQ_SG_SG_S26_S28_EEENS5_IJST_SU_SV_SX_SW_SY_S18_SZ_EEENS5_IJS1I_SW_SX_S1J_S18_NSS_IJLi8EEEENSS_IJLi9ELi10EEEES12_EEENSS_IJLi8ELi9ELi10ELi11EEEElEENS5_IJNSB_INS5_IJSK_SO_SO_NSP_INS5_IJiS27_NS23_IiLi64EEEEEELb0EEES2S_EEENS5_IJST_SU_SV_SW_SX_EEENS5_IJS1I_SW_SX_NSS_IJLi5ELi6ELi7EEEENSS_IJLi8ELi9ELi10EEEEEEENSS_IJLi5ELi6ELi7ELi8ELi9ELi10EEEElEEEEES2Z_NS_31BlockToCTileMap_M00_N00_M01_N01ILi128ELi128ES1R_Lb0EEENS1_30ComputePtrOffsetOfStridedBatchILi1ELi1ELi1EvEELb1ELb1EEEvPKT0_S37_T1_PT2_T3_T4_T5_iT6_T7_T8_T9_T10_T11_
	.p2align	8
	.type	_ZN2ck16tensor_operation6device12_GLOBAL__N_137kernel_grouped_conv_fwd_dl_multiple_dINS_32GridwiseGemmDlMultipleD_km_kn_mnILi256EDF16_fNS_5TupleIJDF16_EEEDF16_NS0_12element_wise11PassThroughES8_NS7_7AddReluELNS_25InMemoryDataOperationEnumE0ENS_16TensorDescriptorINS5_IJNS_5EmbedINS5_IJiiiEEESD_Lb0EEENS_11PassThroughIiEENS_3PadIiiiLb0EEESG_SG_NSC_INS5_IJiiEEESJ_Lb0EEESG_NS_23Merge_v2_magic_divisionISJ_EESM_NS_8RightPadIiiLb0EEESO_NS_7UnMergeISJ_Lb0EEESG_EEENS5_IJNS_8SequenceIJLi0EEEENSS_IJLi1EEEENSS_IJLi2EEEENSS_IJLi3EEEENSS_IJLi4EEEENSS_IJLi5EEEENSS_IJLi6EEEENSS_IJLi7ELi9EEEENSS_IJLi8ELi10EEEENSS_IJLi11EEEENSS_IJLi12EEEENSS_IJLi14EEEENSS_IJLi13EEEEEEENS5_IJNSS_IJLi1ELi2ELi3EEEESX_SY_SZ_NSS_IJLi7EEEENSS_IJLi8ELi9EEEENSS_IJLi10EEEES12_S13_S15_S14_NSS_IJLi15ELi16EEEENSS_IJLi17EEEEEEENSS_IJLi15ELi17ELi16EEEElEENSB_INS5_IJSQ_SO_SO_SQ_SG_EEENS5_IJST_SU_SV_SX_SW_EEENS5_IJNSS_IJLi1ELi2EEEESW_SX_NSS_IJLi5ELi6EEEES18_EEENSS_IJLi5ELi7ELi6EEEElEENSB_INS5_IJSK_SO_SO_EEENS5_IJST_SU_SV_EEENS5_IJS1I_SW_SX_EEENSS_IJLi3ELi4EEEElEELi128ELi128ELi16ELi2ELi4ELi4ELi1ENSS_IJLi8ELi2EEEES1S_NSS_IJLi8ELi1ELi1ELi2EEEENSS_IJLi2ELi1ELi128ELi1EEEENSS_IJLi1ELi2ELi0ELi3EEEES1V_NSS_IJLi4ELi1ELi1ELi2EEEES1V_NSS_IJLi1ELi1ELi1ELi2EEEES1T_S1U_S1V_S1V_S1W_S1V_S1X_NSS_IJLi0ELi1ELi2ELi3ELi4ELi5EEEELi5ELi4EEEDF16_NS5_IJPKDF16_EEEDF16_S8_S8_S9_NSB_INS5_IJSE_SG_SI_SG_SG_SK_SG_SM_SM_SO_SO_SQ_SG_SG_NSP_INS5_IJiNS_17integral_constantIiLi128EEEEEELb0EEENSF_INS23_IiLi2EEEEEEEENS5_IJST_SU_SV_SW_SX_SY_SZ_S10_S11_S12_S13_S14_S15_NSS_IJLi15EEEES1C_NSS_IJLi16EEEEEEENS5_IJS17_SX_SY_SZ_S18_S19_S1A_S12_S13_S15_S14_S1B_S1C_NSS_IJLi18EEEENSS_IJLi19ELi20EEEENSS_IJLi21EEEEEEENSS_IJLi18ELi19ELi20ELi21EEEElEENSB_INS5_IJSQ_SO_SO_SQ_SG_SG_S26_S28_EEENS5_IJST_SU_SV_SX_SW_SY_S18_SZ_EEENS5_IJS1I_SW_SX_S1J_S18_NSS_IJLi8EEEENSS_IJLi9ELi10EEEES12_EEENSS_IJLi8ELi9ELi10ELi11EEEElEENS5_IJNSB_INS5_IJSK_SO_SO_NSP_INS5_IJiS27_NS23_IiLi64EEEEEELb0EEES2S_EEENS5_IJST_SU_SV_SW_SX_EEENS5_IJS1I_SW_SX_NSS_IJLi5ELi6ELi7EEEENSS_IJLi8ELi9ELi10EEEEEEENSS_IJLi5ELi6ELi7ELi8ELi9ELi10EEEElEEEEES2Z_NS_31BlockToCTileMap_M00_N00_M01_N01ILi128ELi128ES1R_Lb0EEENS1_30ComputePtrOffsetOfStridedBatchILi1ELi1ELi1EvEELb1ELb1EEEvPKT0_S37_T1_PT2_T3_T4_T5_iT6_T7_T8_T9_T10_T11_,@function
_ZN2ck16tensor_operation6device12_GLOBAL__N_137kernel_grouped_conv_fwd_dl_multiple_dINS_32GridwiseGemmDlMultipleD_km_kn_mnILi256EDF16_fNS_5TupleIJDF16_EEEDF16_NS0_12element_wise11PassThroughES8_NS7_7AddReluELNS_25InMemoryDataOperationEnumE0ENS_16TensorDescriptorINS5_IJNS_5EmbedINS5_IJiiiEEESD_Lb0EEENS_11PassThroughIiEENS_3PadIiiiLb0EEESG_SG_NSC_INS5_IJiiEEESJ_Lb0EEESG_NS_23Merge_v2_magic_divisionISJ_EESM_NS_8RightPadIiiLb0EEESO_NS_7UnMergeISJ_Lb0EEESG_EEENS5_IJNS_8SequenceIJLi0EEEENSS_IJLi1EEEENSS_IJLi2EEEENSS_IJLi3EEEENSS_IJLi4EEEENSS_IJLi5EEEENSS_IJLi6EEEENSS_IJLi7ELi9EEEENSS_IJLi8ELi10EEEENSS_IJLi11EEEENSS_IJLi12EEEENSS_IJLi14EEEENSS_IJLi13EEEEEEENS5_IJNSS_IJLi1ELi2ELi3EEEESX_SY_SZ_NSS_IJLi7EEEENSS_IJLi8ELi9EEEENSS_IJLi10EEEES12_S13_S15_S14_NSS_IJLi15ELi16EEEENSS_IJLi17EEEEEEENSS_IJLi15ELi17ELi16EEEElEENSB_INS5_IJSQ_SO_SO_SQ_SG_EEENS5_IJST_SU_SV_SX_SW_EEENS5_IJNSS_IJLi1ELi2EEEESW_SX_NSS_IJLi5ELi6EEEES18_EEENSS_IJLi5ELi7ELi6EEEElEENSB_INS5_IJSK_SO_SO_EEENS5_IJST_SU_SV_EEENS5_IJS1I_SW_SX_EEENSS_IJLi3ELi4EEEElEELi128ELi128ELi16ELi2ELi4ELi4ELi1ENSS_IJLi8ELi2EEEES1S_NSS_IJLi8ELi1ELi1ELi2EEEENSS_IJLi2ELi1ELi128ELi1EEEENSS_IJLi1ELi2ELi0ELi3EEEES1V_NSS_IJLi4ELi1ELi1ELi2EEEES1V_NSS_IJLi1ELi1ELi1ELi2EEEES1T_S1U_S1V_S1V_S1W_S1V_S1X_NSS_IJLi0ELi1ELi2ELi3ELi4ELi5EEEELi5ELi4EEEDF16_NS5_IJPKDF16_EEEDF16_S8_S8_S9_NSB_INS5_IJSE_SG_SI_SG_SG_SK_SG_SM_SM_SO_SO_SQ_SG_SG_NSP_INS5_IJiNS_17integral_constantIiLi128EEEEEELb0EEENSF_INS23_IiLi2EEEEEEEENS5_IJST_SU_SV_SW_SX_SY_SZ_S10_S11_S12_S13_S14_S15_NSS_IJLi15EEEES1C_NSS_IJLi16EEEEEEENS5_IJS17_SX_SY_SZ_S18_S19_S1A_S12_S13_S15_S14_S1B_S1C_NSS_IJLi18EEEENSS_IJLi19ELi20EEEENSS_IJLi21EEEEEEENSS_IJLi18ELi19ELi20ELi21EEEElEENSB_INS5_IJSQ_SO_SO_SQ_SG_SG_S26_S28_EEENS5_IJST_SU_SV_SX_SW_SY_S18_SZ_EEENS5_IJS1I_SW_SX_S1J_S18_NSS_IJLi8EEEENSS_IJLi9ELi10EEEES12_EEENSS_IJLi8ELi9ELi10ELi11EEEElEENS5_IJNSB_INS5_IJSK_SO_SO_NSP_INS5_IJiS27_NS23_IiLi64EEEEEELb0EEES2S_EEENS5_IJST_SU_SV_SW_SX_EEENS5_IJS1I_SW_SX_NSS_IJLi5ELi6ELi7EEEENSS_IJLi8ELi9ELi10EEEEEEENSS_IJLi5ELi6ELi7ELi8ELi9ELi10EEEElEEEEES2Z_NS_31BlockToCTileMap_M00_N00_M01_N01ILi128ELi128ES1R_Lb0EEENS1_30ComputePtrOffsetOfStridedBatchILi1ELi1ELi1EvEELb1ELb1EEEvPKT0_S37_T1_PT2_T3_T4_T5_iT6_T7_T8_T9_T10_T11_: ; @_ZN2ck16tensor_operation6device12_GLOBAL__N_137kernel_grouped_conv_fwd_dl_multiple_dINS_32GridwiseGemmDlMultipleD_km_kn_mnILi256EDF16_fNS_5TupleIJDF16_EEEDF16_NS0_12element_wise11PassThroughES8_NS7_7AddReluELNS_25InMemoryDataOperationEnumE0ENS_16TensorDescriptorINS5_IJNS_5EmbedINS5_IJiiiEEESD_Lb0EEENS_11PassThroughIiEENS_3PadIiiiLb0EEESG_SG_NSC_INS5_IJiiEEESJ_Lb0EEESG_NS_23Merge_v2_magic_divisionISJ_EESM_NS_8RightPadIiiLb0EEESO_NS_7UnMergeISJ_Lb0EEESG_EEENS5_IJNS_8SequenceIJLi0EEEENSS_IJLi1EEEENSS_IJLi2EEEENSS_IJLi3EEEENSS_IJLi4EEEENSS_IJLi5EEEENSS_IJLi6EEEENSS_IJLi7ELi9EEEENSS_IJLi8ELi10EEEENSS_IJLi11EEEENSS_IJLi12EEEENSS_IJLi14EEEENSS_IJLi13EEEEEEENS5_IJNSS_IJLi1ELi2ELi3EEEESX_SY_SZ_NSS_IJLi7EEEENSS_IJLi8ELi9EEEENSS_IJLi10EEEES12_S13_S15_S14_NSS_IJLi15ELi16EEEENSS_IJLi17EEEEEEENSS_IJLi15ELi17ELi16EEEElEENSB_INS5_IJSQ_SO_SO_SQ_SG_EEENS5_IJST_SU_SV_SX_SW_EEENS5_IJNSS_IJLi1ELi2EEEESW_SX_NSS_IJLi5ELi6EEEES18_EEENSS_IJLi5ELi7ELi6EEEElEENSB_INS5_IJSK_SO_SO_EEENS5_IJST_SU_SV_EEENS5_IJS1I_SW_SX_EEENSS_IJLi3ELi4EEEElEELi128ELi128ELi16ELi2ELi4ELi4ELi1ENSS_IJLi8ELi2EEEES1S_NSS_IJLi8ELi1ELi1ELi2EEEENSS_IJLi2ELi1ELi128ELi1EEEENSS_IJLi1ELi2ELi0ELi3EEEES1V_NSS_IJLi4ELi1ELi1ELi2EEEES1V_NSS_IJLi1ELi1ELi1ELi2EEEES1T_S1U_S1V_S1V_S1W_S1V_S1X_NSS_IJLi0ELi1ELi2ELi3ELi4ELi5EEEELi5ELi4EEEDF16_NS5_IJPKDF16_EEEDF16_S8_S8_S9_NSB_INS5_IJSE_SG_SI_SG_SG_SK_SG_SM_SM_SO_SO_SQ_SG_SG_NSP_INS5_IJiNS_17integral_constantIiLi128EEEEEELb0EEENSF_INS23_IiLi2EEEEEEEENS5_IJST_SU_SV_SW_SX_SY_SZ_S10_S11_S12_S13_S14_S15_NSS_IJLi15EEEES1C_NSS_IJLi16EEEEEEENS5_IJS17_SX_SY_SZ_S18_S19_S1A_S12_S13_S15_S14_S1B_S1C_NSS_IJLi18EEEENSS_IJLi19ELi20EEEENSS_IJLi21EEEEEEENSS_IJLi18ELi19ELi20ELi21EEEElEENSB_INS5_IJSQ_SO_SO_SQ_SG_SG_S26_S28_EEENS5_IJST_SU_SV_SX_SW_SY_S18_SZ_EEENS5_IJS1I_SW_SX_S1J_S18_NSS_IJLi8EEEENSS_IJLi9ELi10EEEES12_EEENSS_IJLi8ELi9ELi10ELi11EEEElEENS5_IJNSB_INS5_IJSK_SO_SO_NSP_INS5_IJiS27_NS23_IiLi64EEEEEELb0EEES2S_EEENS5_IJST_SU_SV_SW_SX_EEENS5_IJS1I_SW_SX_NSS_IJLi5ELi6ELi7EEEENSS_IJLi8ELi9ELi10EEEEEEENSS_IJLi5ELi6ELi7ELi8ELi9ELi10EEEElEEEEES2Z_NS_31BlockToCTileMap_M00_N00_M01_N01ILi128ELi128ES1R_Lb0EEENS1_30ComputePtrOffsetOfStridedBatchILi1ELi1ELi1EvEELb1ELb1EEEvPKT0_S37_T1_PT2_T3_T4_T5_iT6_T7_T8_T9_T10_T11_
; %bb.0:
	s_load_dword s4, s[0:1], 0x24
	s_load_dwordx4 s[28:31], s[0:1], 0x0
	s_load_dwordx2 s[44:45], s[0:1], 0x18
	s_load_dwordx8 s[12:19], s[0:1], 0x34
	s_load_dword s6, s[0:1], 0x288
	s_load_dword s47, s[0:1], 0x48
	s_load_dwordx2 s[42:43], s[0:1], 0x60
	s_load_dword s3, s[0:1], 0x70
	s_load_dword s33, s[0:1], 0x78
	s_waitcnt lgkmcnt(0)
	s_load_dword s15, s[0:1], 0x80
	s_load_dword s48, s[0:1], 0x8c
	;; [unrolled: 1-line block ×4, first 2 shown]
	v_lshrrev_b32_e32 v20, 1, v0
	v_lshrrev_b32_e32 v26, 5, v0
	s_abs_i32 s5, s4
	v_cvt_f32_u32_e32 v1, s5
	s_sub_i32 s7, 0, s5
	s_xor_b32 s4, s6, s4
	s_abs_i32 s6, s6
	v_rcp_iflag_f32_e32 v1, v1
	s_ashr_i32 s4, s4, 31
	v_lshlrev_b32_e32 v28, 1, v0
	v_lshlrev_b32_e32 v27, 6, v26
	v_mul_f32_e32 v1, 0x4f7ffffe, v1
	v_cvt_u32_f32_e32 v1, v1
	v_and_b32_e32 v29, 0x1f8, v28
	v_sub_u32_e32 v27, v29, v27
	s_mov_b32 s55, s13
	v_readfirstlane_b32 s8, v1
	s_mul_i32 s7, s7, s8
	s_mul_hi_u32 s7, s8, s7
	s_add_i32 s8, s8, s7
	s_mul_hi_u32 s7, s6, s8
	s_mul_i32 s8, s7, s5
	s_sub_i32 s6, s6, s8
	s_add_i32 s8, s7, 1
	s_sub_i32 s9, s6, s5
	s_cmp_ge_u32 s6, s5
	s_cselect_b32 s7, s8, s7
	s_cselect_b32 s6, s9, s6
	s_add_i32 s8, s7, 1
	s_cmp_ge_u32 s6, s5
	s_cselect_b32 s5, s8, s7
	s_xor_b32 s5, s5, s4
	s_sub_i32 s35, s5, s4
	s_abs_i32 s46, s35
	v_cvt_f32_u32_e32 v1, s46
	s_load_dword s58, s[0:1], 0x120
	s_load_dword s34, s[0:1], 0x148
	s_load_dwordx2 s[40:41], s[0:1], 0x158
	s_load_dword s17, s[0:1], 0x164
	s_load_dword s19, s[0:1], 0x170
	s_load_dwordx8 s[4:11], s[0:1], 0x224
	s_waitcnt lgkmcnt(0)
	s_xor_b32 s5, s2, s35
	s_sub_i32 s35, 0, s46
	v_rcp_iflag_f32_e32 v1, v1
	s_abs_i32 s7, s2
	s_ashr_i32 s5, s5, 31
	s_load_dwordx4 s[36:39], s[0:1], 0x248
	s_load_dwordx8 s[20:27], s[0:1], 0x260
	v_mul_f32_e32 v1, 0x4f7ffffe, v1
	v_cvt_u32_f32_e32 v1, v1
	s_mul_hi_u32 s11, s11, s2
	s_mov_b32 s56, s14
	v_mov_b32_e32 v40, 0
	v_readfirstlane_b32 s51, v1
	s_mul_i32 s35, s35, s51
	s_mul_hi_u32 s35, s51, s35
	s_add_i32 s51, s51, s35
	s_mul_hi_u32 s35, s7, s51
	s_mul_i32 s51, s35, s46
	s_sub_i32 s7, s7, s51
	s_add_i32 s51, s35, 1
	s_sub_i32 s52, s7, s46
	s_cmp_ge_u32 s7, s46
	s_cselect_b32 s35, s51, s35
	s_cselect_b32 s7, s52, s7
	s_add_i32 s51, s35, 1
	s_cmp_ge_u32 s7, s46
	s_cselect_b32 s7, s51, s35
	s_xor_b32 s7, s7, s5
	s_sub_i32 s51, s7, s5
	s_ashr_i32 s52, s51, 31
	s_waitcnt lgkmcnt(0)
	s_mul_i32 s5, s20, s52
	s_mul_hi_u32 s7, s20, s51
	s_add_i32 s5, s7, s5
	s_mul_i32 s7, s21, s51
	s_add_i32 s21, s5, s7
	s_mul_i32 s5, s22, s52
	s_mul_hi_u32 s7, s22, s51
	s_mul_i32 s20, s20, s51
	s_add_i32 s5, s7, s5
	s_mul_i32 s7, s23, s51
	s_add_i32 s23, s5, s7
	s_lshl_b64 s[20:21], s[20:21], 1
	s_mul_i32 s22, s22, s51
	s_add_u32 s20, s28, s20
	s_addc_u32 s5, s29, s21
	s_lshl_b64 s[22:23], s[22:23], 1
	s_add_u32 s28, s30, s22
	s_addc_u32 s7, s31, s23
	s_add_i32 s11, s2, s11
	s_lshr_b32 s11, s11, s39
	s_mul_hi_u32 s10, s11, s10
	s_add_i32 s10, s11, s10
	s_lshr_b32 s10, s10, s38
	s_mul_hi_u32 s9, s10, s9
	s_load_dword s21, s[0:1], 0x204
	s_load_dword s22, s[0:1], 0x214
	s_load_dwordx4 s[60:63], s[0:1], 0x220
	s_add_i32 s9, s10, s9
	s_lshr_b32 s9, s9, s37
	s_mul_i32 s6, s11, s6
	s_sub_i32 s46, s2, s6
	s_mul_hi_u32 s2, s9, s8
	s_add_i32 s2, s9, s2
	s_lshr_b32 s2, s2, s36
	s_mul_i32 s4, s9, s4
	s_waitcnt lgkmcnt(0)
	s_mul_i32 s2, s2, s60
	s_sub_i32 s4, s10, s4
	s_mul_i32 s10, s10, s62
	s_sub_i32 s2, s9, s2
	v_lshlrev_b32_e32 v1, 3, v0
	s_sub_i32 s6, s11, s10
	s_mul_i32 s4, s4, s22
	s_load_dwordx2 s[36:37], s[0:1], 0x1e8
	s_mul_i32 s2, s2, s21
	v_and_b32_e32 v21, 8, v1
	s_add_i32 s46, s46, s4
	s_waitcnt lgkmcnt(0)
	s_add_i32 s37, s6, s2
	s_load_dword s61, s[0:1], 0xc4
	s_load_dword s57, s[0:1], 0xd0
	;; [unrolled: 1-line block ×7, first 2 shown]
	s_waitcnt lgkmcnt(0)
	v_mul_lo_u32 v23, s61, v21
	v_mul_hi_u32 v1, v23, s50
	v_add_u32_e32 v1, v23, v1
	v_lshrrev_b32_e32 v6, s49, v1
	v_lshl_or_b32 v22, s37, 7, v20
	v_mul_lo_u32 v1, v6, s48
	v_sub_u32_e32 v7, v23, v1
	v_mul_hi_u32 v1, v22, s33
	v_add_u32_e32 v1, v22, v1
	v_lshrrev_b32_e32 v1, s15, v1
	v_mul_lo_u32 v2, v1, s3
	v_sub_u32_e32 v3, v22, v2
	v_mul_lo_u32 v2, v6, s42
	v_mad_u64_u32 v[18:19], s[2:3], v3, s43, v[2:3]
	v_subrev_u32_e32 v2, s47, v18
	v_mul_lo_u32 v1, v1, s12
	v_mul_lo_u32 v2, v2, s13
	;; [unrolled: 1-line block ×3, first 2 shown]
	v_add3_u32 v8, v1, v3, v2
	s_lshl_b32 s43, s61, 2
	s_lshl_b32 s22, s4, 1
	s_and_b32 s21, s5, 0xffff
	s_mov_b32 s23, 0x20000
	v_lshlrev_b32_e32 v1, 1, v8
	v_add_u32_e32 v88, s43, v23
	buffer_load_dwordx4 v[2:5], v1, s[20:23], 0 offen
	v_mul_hi_u32 v1, v88, s50
	v_add_u32_e32 v1, v88, v1
	v_lshrrev_b32_e32 v80, s49, v1
	v_mul_lo_u32 v1, v80, s48
	v_sub_u32_e32 v1, v88, v1
	v_sub_u32_e32 v6, v80, v6
	;; [unrolled: 1-line block ×3, first 2 shown]
	v_mul_lo_u32 v25, v6, s42
	v_mul_lo_u32 v6, v25, s13
	;; [unrolled: 1-line block ×3, first 2 shown]
	v_lshl_or_b32 v19, s46, 7, v20
	v_add3_u32 v81, v7, v6, v8
	v_mul_lo_u32 v24, s58, v21
	v_lshlrev_b32_e32 v6, 1, v81
	v_mul_lo_u32 v89, v19, s6
	buffer_load_dwordx4 v[6:9], v6, s[20:23], 0 offen
	v_add_u32_e32 v14, v89, v24
	s_and_b32 s29, s7, 0xffff
	s_lshl_b32 s10, s34, 1
	s_mov_b32 s8, s28
	s_mov_b32 s9, s29
	;; [unrolled: 1-line block ×3, first 2 shown]
	v_lshlrev_b32_e32 v10, 1, v14
	buffer_load_dwordx4 v[10:13], v10, s[8:11], 0 offen
	s_lshl_b32 s12, s58, 2
	v_add_lshl_u32 v14, v14, s12, 1
	buffer_load_dwordx4 v[14:17], v14, s[8:11], 0 offen
	s_load_dword s4, s[0:1], 0xa8
	s_sub_i32 s18, s16, s18
	v_cmp_gt_i32_e64 s[2:3], s53, v23
	v_cmp_gt_i32_e64 s[6:7], s18, v18
	s_and_b64 s[2:3], s[6:7], s[2:3]
	s_waitcnt lgkmcnt(0)
	v_cmp_gt_i32_e32 vcc, s4, v22
	v_cmp_le_i32_e64 s[4:5], s47, v18
	v_lshlrev_b32_e32 v0, 2, v0
	s_and_b64 s[2:3], s[2:3], s[4:5]
	v_and_or_b32 v83, v0, 4, v27
	v_lshlrev_b32_e32 v0, 3, v26
	s_and_b64 s[2:3], vcc, s[2:3]
	v_add_u32_e32 v109, v18, v25
	v_and_or_b32 v84, v28, 4, v0
	v_cmp_gt_i32_e64 s[6:7], s18, v109
	v_cmp_le_i32_e64 s[4:5], s47, v109
	v_add_u32_e32 v90, s12, v24
	s_load_dwordx2 s[38:39], s[0:1], 0x198
	s_load_dwordx2 s[34:35], s[0:1], 0x1a8
	s_load_dword s15, s[0:1], 0x1b4
	s_load_dword s33, s[0:1], 0x1c0
	s_mov_b32 s11, 0
	s_mov_b32 s31, s23
	v_lshlrev_b32_e32 v85, 2, v84
	v_lshlrev_b32_e32 v86, 2, v83
	s_sub_i32 s16, s57, 32
	s_waitcnt lgkmcnt(0)
	s_mul_i32 s39, s61, 12
	s_lshl_b32 s57, s58, 5
	v_lshlrev_b32_e32 v96, 1, v89
	s_lshl_b32 s59, s61, 5
	s_sub_i32 s60, 0, s48
	v_mov_b32_e32 v37, 0
	v_mov_b32_e32 v36, 0
	;; [unrolled: 1-line block ×24, first 2 shown]
	s_waitcnt vmcnt(3)
	v_cndmask_b32_e64 v0, 0, v5, s[2:3]
	v_cndmask_b32_e64 v4, 0, v4, s[2:3]
	;; [unrolled: 1-line block ×4, first 2 shown]
	v_cmp_gt_i32_e64 s[2:3], s53, v88
	s_and_b64 s[2:3], s[6:7], s[2:3]
	s_and_b64 s[2:3], s[2:3], s[4:5]
	s_and_b64 s[2:3], vcc, s[2:3]
	v_cmp_gt_i32_e64 s[4:5], s54, v24
	v_mov_b32_e32 v24, 0
	v_mov_b32_e32 v51, 0
	;; [unrolled: 1-line block ×7, first 2 shown]
	s_waitcnt vmcnt(2)
	v_cndmask_b32_e64 v5, 0, v9, s[2:3]
	v_cndmask_b32_e64 v8, 0, v8, s[2:3]
	;; [unrolled: 1-line block ×4, first 2 shown]
	v_cmp_gt_i32_e64 s[2:3], s30, v19
	s_and_b64 s[4:5], s[4:5], s[2:3]
	s_mov_b32 s30, s10
	s_mul_i32 s10, s58, 12
	s_waitcnt vmcnt(1)
	v_cndmask_b32_e64 v9, 0, v13, s[4:5]
	v_cndmask_b32_e64 v12, 0, v12, s[4:5]
	;; [unrolled: 1-line block ×4, first 2 shown]
	v_cmp_gt_i32_e64 s[4:5], s54, v90
	s_and_b64 s[4:5], s[4:5], s[2:3]
	v_mov_b32_e32 v19, 0
	s_waitcnt vmcnt(0)
	v_cndmask_b32_e64 v13, 0, v17, s[4:5]
	v_lshlrev_b32_e32 v17, 2, v20
	v_lshl_or_b32 v87, v21, 9, v17
	v_cndmask_b32_e64 v16, 0, v16, s[4:5]
	v_cndmask_b32_e64 v15, 0, v15, s[4:5]
	;; [unrolled: 1-line block ×3, first 2 shown]
	ds_write2st64_b32 v87, v2, v3 offset1:2
	ds_write2st64_b32 v87, v4, v0 offset0:4 offset1:6
	ds_write2st64_b32 v87, v6, v7 offset0:8 offset1:10
	;; [unrolled: 1-line block ×7, first 2 shown]
	v_or_b32_e32 v0, 36, v21
	v_or_b32_e32 v2, 32, v21
	;; [unrolled: 1-line block ×4, first 2 shown]
	v_mul_lo_u32 v91, s58, v0
	v_mul_lo_u32 v92, s58, v2
	;; [unrolled: 1-line block ×8, first 2 shown]
	v_lshlrev_b32_e32 v95, 1, v91
	s_lshl_b32 s58, s58, 6
	v_lshlrev_b32_e32 v97, 1, v92
	v_lshlrev_b32_e32 v98, 1, v93
	;; [unrolled: 1-line block ×3, first 2 shown]
	v_mov_b32_e32 v104, v103
	v_mov_b32_e32 v105, v102
	;; [unrolled: 1-line block ×34, first 2 shown]
	s_mov_b32 s61, 0
	v_mov_b32_e32 v107, v100
	v_mov_b32_e32 v108, v88
.LBB1_1:                                ; =>This Inner Loop Header: Depth=1
	v_mul_hi_u32 v0, s50, v107
	v_add_u32_e32 v112, s11, v100
	v_add_u32_e32 v0, v112, v0
	v_lshrrev_b32_e32 v0, s49, v0
	v_mul_lo_u32 v3, s60, v0
	v_sub_u32_e32 v2, v0, v80
	v_sub_u32_e32 v1, v3, v1
	v_mul_lo_u32 v113, v2, s42
	v_add_u32_e32 v1, v112, v1
	v_mul_lo_u32 v1, v1, s56
	v_mul_lo_u32 v2, v113, s55
	v_add3_u32 v1, v2, v81, v1
	v_mul_hi_u32 v2, s50, v106
	v_add_u32_e32 v82, s11, v101
	v_add_u32_e32 v2, v82, v2
	v_lshrrev_b32_e32 v111, s49, v2
	v_sub_u32_e32 v0, v111, v0
	v_add_u32_e32 v2, v112, v3
	v_mad_u64_u32 v[80:81], s[4:5], s60, v111, v[82:83]
	v_mul_lo_u32 v110, v0, s42
	v_sub_u32_e32 v0, v80, v2
	v_mul_lo_u32 v0, v0, s14
	v_mul_lo_u32 v2, v110, s13
	v_add3_u32 v81, v1, v2, v0
	v_lshlrev_b32_e32 v0, 1, v1
	v_add_u32_e32 v1, v99, v96
	v_add_u32_e32 v2, v98, v96
	v_lshlrev_b32_e32 v3, 1, v81
	buffer_load_dwordx4 v[4:7], v1, s[28:31], 0 offen
	buffer_load_dwordx4 v[8:11], v2, s[28:31], 0 offen
	;; [unrolled: 1-line block ×3, first 2 shown]
	s_nop 0
	buffer_load_dwordx4 v[0:3], v3, s[20:23], 0 offen
	s_waitcnt lgkmcnt(0)
	s_barrier
	ds_read_b128 v[114:117], v85
	ds_read_b128 v[118:121], v86 offset:16384
	ds_read_b128 v[122:125], v86 offset:16640
	v_cmp_gt_i32_e64 s[4:5], s54, v94
	s_and_b64 s[4:5], s[2:3], s[4:5]
	v_add_u32_e32 v109, v113, v109
	s_waitcnt lgkmcnt(1)
	v_dot2c_f32_f16_e32 v78, v114, v118
	v_dot2c_f32_f16_e32 v79, v114, v119
	;; [unrolled: 1-line block ×16, first 2 shown]
	s_waitcnt lgkmcnt(0)
	v_dot2c_f32_f16_e32 v74, v114, v122
	v_dot2c_f32_f16_e32 v75, v114, v123
	;; [unrolled: 1-line block ×16, first 2 shown]
	ds_read_b128 v[114:117], v85 offset:256
	v_cmp_gt_i32_e64 s[8:9], s18, v109
	v_cmp_le_i32_e64 s[6:7], s47, v109
	v_add_u32_e32 v109, v110, v109
	s_add_i32 s61, s61, 32
	s_waitcnt lgkmcnt(0)
	v_dot2c_f32_f16_e32 v18, v114, v118
	v_dot2c_f32_f16_e32 v19, v114, v119
	;; [unrolled: 1-line block ×32, first 2 shown]
	ds_read_b128 v[114:117], v85 offset:512
	ds_read_b128 v[118:121], v86 offset:16896
	;; [unrolled: 1-line block ×3, first 2 shown]
	s_waitcnt vmcnt(3)
	v_cndmask_b32_e64 v7, 0, v7, s[4:5]
	v_cndmask_b32_e64 v6, 0, v6, s[4:5]
	;; [unrolled: 1-line block ×3, first 2 shown]
	s_waitcnt lgkmcnt(1)
	v_dot2c_f32_f16_e32 v78, v114, v118
	v_dot2c_f32_f16_e32 v79, v114, v119
	;; [unrolled: 1-line block ×16, first 2 shown]
	s_waitcnt lgkmcnt(0)
	v_dot2c_f32_f16_e32 v74, v114, v122
	v_dot2c_f32_f16_e32 v75, v114, v123
	;; [unrolled: 1-line block ×16, first 2 shown]
	ds_read_b128 v[114:117], v85 offset:768
	v_cndmask_b32_e64 v4, 0, v4, s[4:5]
	v_cmp_gt_i32_e64 s[4:5], s54, v93
	s_and_b64 s[4:5], s[2:3], s[4:5]
	v_add_u32_e32 v93, s57, v93
	s_waitcnt lgkmcnt(0)
	v_dot2c_f32_f16_e32 v18, v114, v118
	v_dot2c_f32_f16_e32 v19, v114, v119
	;; [unrolled: 1-line block ×32, first 2 shown]
	ds_read_b128 v[114:117], v85 offset:1024
	ds_read_b128 v[118:121], v86 offset:17408
	;; [unrolled: 1-line block ×3, first 2 shown]
	s_waitcnt vmcnt(2)
	v_cndmask_b32_e64 v11, 0, v11, s[4:5]
	v_cndmask_b32_e64 v10, 0, v10, s[4:5]
	;; [unrolled: 1-line block ×3, first 2 shown]
	s_waitcnt lgkmcnt(1)
	v_dot2c_f32_f16_e32 v78, v114, v118
	v_dot2c_f32_f16_e32 v79, v114, v119
	;; [unrolled: 1-line block ×16, first 2 shown]
	s_waitcnt lgkmcnt(0)
	v_dot2c_f32_f16_e32 v74, v114, v122
	v_dot2c_f32_f16_e32 v75, v114, v123
	;; [unrolled: 1-line block ×16, first 2 shown]
	ds_read_b128 v[114:117], v85 offset:1280
	v_cndmask_b32_e64 v8, 0, v8, s[4:5]
	v_cmp_gt_i32_e64 s[4:5], s53, v112
	s_and_b64 s[4:5], s[8:9], s[4:5]
	s_and_b64 s[4:5], s[4:5], s[6:7]
	s_waitcnt lgkmcnt(0)
	v_dot2c_f32_f16_e32 v18, v114, v118
	v_dot2c_f32_f16_e32 v19, v114, v119
	;; [unrolled: 1-line block ×32, first 2 shown]
	ds_read_b128 v[114:117], v85 offset:1536
	ds_read_b128 v[118:121], v86 offset:17920
	;; [unrolled: 1-line block ×3, first 2 shown]
	s_and_b64 s[4:5], vcc, s[4:5]
	s_waitcnt vmcnt(1)
	v_cndmask_b32_e64 v15, 0, v15, s[4:5]
	v_cndmask_b32_e64 v14, 0, v14, s[4:5]
	s_waitcnt lgkmcnt(1)
	v_dot2c_f32_f16_e32 v78, v114, v118
	v_dot2c_f32_f16_e32 v79, v114, v119
	;; [unrolled: 1-line block ×16, first 2 shown]
	s_waitcnt lgkmcnt(0)
	v_dot2c_f32_f16_e32 v74, v114, v122
	v_dot2c_f32_f16_e32 v75, v114, v123
	;; [unrolled: 1-line block ×16, first 2 shown]
	ds_read_b128 v[114:117], v85 offset:1792
	v_cndmask_b32_e64 v13, 0, v13, s[4:5]
	v_cndmask_b32_e64 v12, 0, v12, s[4:5]
	v_cmp_gt_i32_e64 s[4:5], s53, v82
	v_cmp_gt_i32_e64 s[8:9], s18, v109
	s_waitcnt lgkmcnt(0)
	v_dot2c_f32_f16_e32 v18, v114, v118
	v_dot2c_f32_f16_e32 v19, v114, v119
	;; [unrolled: 1-line block ×32, first 2 shown]
	ds_read_b128 v[114:117], v85 offset:2048
	ds_read_b128 v[118:121], v86 offset:18432
	;; [unrolled: 1-line block ×3, first 2 shown]
	v_cmp_le_i32_e64 s[6:7], s47, v109
	s_and_b64 s[4:5], s[8:9], s[4:5]
	s_and_b64 s[4:5], s[4:5], s[6:7]
	s_waitcnt lgkmcnt(1)
	v_dot2c_f32_f16_e32 v78, v114, v118
	v_dot2c_f32_f16_e32 v79, v114, v119
	;; [unrolled: 1-line block ×16, first 2 shown]
	s_waitcnt lgkmcnt(0)
	v_dot2c_f32_f16_e32 v74, v114, v122
	v_dot2c_f32_f16_e32 v75, v114, v123
	;; [unrolled: 1-line block ×16, first 2 shown]
	ds_read_b128 v[114:117], v85 offset:2304
	s_and_b64 s[4:5], vcc, s[4:5]
	v_add_u32_e32 v82, s11, v102
	s_waitcnt vmcnt(0)
	v_cndmask_b32_e64 v3, 0, v3, s[4:5]
	v_cndmask_b32_e64 v2, 0, v2, s[4:5]
	s_waitcnt lgkmcnt(0)
	v_dot2c_f32_f16_e32 v18, v114, v118
	v_dot2c_f32_f16_e32 v19, v114, v119
	;; [unrolled: 1-line block ×32, first 2 shown]
	ds_read_b128 v[114:117], v85 offset:2560
	ds_read_b128 v[118:121], v86 offset:18944
	;; [unrolled: 1-line block ×3, first 2 shown]
	v_add_u32_e32 v112, s11, v103
	s_add_i32 s11, s11, s59
	v_add_u32_e32 v94, s57, v94
	s_waitcnt lgkmcnt(1)
	v_dot2c_f32_f16_e32 v78, v114, v118
	v_dot2c_f32_f16_e32 v79, v114, v119
	;; [unrolled: 1-line block ×16, first 2 shown]
	s_waitcnt lgkmcnt(0)
	v_dot2c_f32_f16_e32 v74, v114, v122
	v_dot2c_f32_f16_e32 v75, v114, v123
	;; [unrolled: 1-line block ×16, first 2 shown]
	ds_read_b128 v[114:117], v85 offset:2816
	v_add_u32_e32 v107, s59, v107
	v_add_u32_e32 v106, s59, v106
	s_waitcnt lgkmcnt(0)
	v_dot2c_f32_f16_e32 v18, v114, v118
	v_dot2c_f32_f16_e32 v19, v114, v119
	;; [unrolled: 1-line block ×32, first 2 shown]
	ds_read_b128 v[114:117], v85 offset:3072
	ds_read_b128 v[118:121], v86 offset:19456
	;; [unrolled: 1-line block ×3, first 2 shown]
	s_waitcnt lgkmcnt(1)
	v_dot2c_f32_f16_e32 v78, v114, v118
	v_dot2c_f32_f16_e32 v79, v114, v119
	;; [unrolled: 1-line block ×16, first 2 shown]
	s_waitcnt lgkmcnt(0)
	v_dot2c_f32_f16_e32 v74, v114, v122
	v_dot2c_f32_f16_e32 v75, v114, v123
	;; [unrolled: 1-line block ×16, first 2 shown]
	ds_read_b128 v[114:117], v85 offset:3328
	s_waitcnt lgkmcnt(0)
	v_dot2c_f32_f16_e32 v18, v114, v118
	v_dot2c_f32_f16_e32 v19, v114, v119
	;; [unrolled: 1-line block ×32, first 2 shown]
	ds_read_b128 v[114:117], v85 offset:3584
	ds_read_b128 v[118:121], v86 offset:19968
	;; [unrolled: 1-line block ×3, first 2 shown]
	s_waitcnt lgkmcnt(1)
	v_dot2c_f32_f16_e32 v78, v114, v118
	v_dot2c_f32_f16_e32 v79, v114, v119
	;; [unrolled: 1-line block ×16, first 2 shown]
	s_waitcnt lgkmcnt(0)
	v_dot2c_f32_f16_e32 v74, v114, v122
	v_dot2c_f32_f16_e32 v75, v114, v123
	;; [unrolled: 1-line block ×16, first 2 shown]
	ds_read_b128 v[114:117], v85 offset:3840
	s_waitcnt lgkmcnt(0)
	v_dot2c_f32_f16_e32 v18, v114, v118
	v_dot2c_f32_f16_e32 v19, v114, v119
	;; [unrolled: 1-line block ×32, first 2 shown]
	ds_read_b128 v[114:117], v85 offset:4096
	ds_read_b128 v[118:121], v86 offset:20480
	;; [unrolled: 1-line block ×3, first 2 shown]
	s_waitcnt lgkmcnt(1)
	v_dot2c_f32_f16_e32 v78, v114, v118
	v_dot2c_f32_f16_e32 v79, v114, v119
	;; [unrolled: 1-line block ×16, first 2 shown]
	s_waitcnt lgkmcnt(0)
	v_dot2c_f32_f16_e32 v74, v114, v122
	v_dot2c_f32_f16_e32 v75, v114, v123
	;; [unrolled: 1-line block ×16, first 2 shown]
	ds_read_b128 v[114:117], v85 offset:4352
	s_waitcnt lgkmcnt(0)
	v_dot2c_f32_f16_e32 v18, v114, v118
	v_dot2c_f32_f16_e32 v19, v114, v119
	;; [unrolled: 1-line block ×32, first 2 shown]
	ds_read_b128 v[114:117], v85 offset:4608
	ds_read_b128 v[118:121], v86 offset:20992
	;; [unrolled: 1-line block ×3, first 2 shown]
	s_waitcnt lgkmcnt(1)
	v_dot2c_f32_f16_e32 v78, v114, v118
	v_dot2c_f32_f16_e32 v79, v114, v119
	;; [unrolled: 1-line block ×16, first 2 shown]
	s_waitcnt lgkmcnt(0)
	v_dot2c_f32_f16_e32 v74, v114, v122
	v_dot2c_f32_f16_e32 v75, v114, v123
	v_dot2c_f32_f16_e32 v72, v114, v124
	v_dot2c_f32_f16_e32 v73, v114, v125
	v_dot2c_f32_f16_e32 v70, v115, v122
	v_dot2c_f32_f16_e32 v71, v115, v123
	v_dot2c_f32_f16_e32 v68, v115, v124
	v_dot2c_f32_f16_e32 v69, v115, v125
	v_dot2c_f32_f16_e32 v58, v116, v122
	v_dot2c_f32_f16_e32 v59, v116, v123
	v_dot2c_f32_f16_e32 v56, v116, v124
	v_dot2c_f32_f16_e32 v57, v116, v125
	v_dot2c_f32_f16_e32 v54, v117, v122
	v_dot2c_f32_f16_e32 v55, v117, v123
	v_dot2c_f32_f16_e32 v52, v117, v124
	v_dot2c_f32_f16_e32 v53, v117, v125
	ds_read_b128 v[114:117], v85 offset:4864
	s_waitcnt lgkmcnt(0)
	v_dot2c_f32_f16_e32 v18, v114, v118
	v_dot2c_f32_f16_e32 v19, v114, v119
	;; [unrolled: 1-line block ×32, first 2 shown]
	ds_read_b128 v[114:117], v85 offset:5120
	ds_read_b128 v[118:121], v86 offset:21504
	ds_read_b128 v[122:125], v86 offset:21760
	s_waitcnt lgkmcnt(1)
	v_dot2c_f32_f16_e32 v78, v114, v118
	v_dot2c_f32_f16_e32 v79, v114, v119
	;; [unrolled: 1-line block ×16, first 2 shown]
	s_waitcnt lgkmcnt(0)
	v_dot2c_f32_f16_e32 v74, v114, v122
	v_dot2c_f32_f16_e32 v75, v114, v123
	;; [unrolled: 1-line block ×16, first 2 shown]
	ds_read_b128 v[114:117], v85 offset:5376
	s_waitcnt lgkmcnt(0)
	v_dot2c_f32_f16_e32 v18, v114, v118
	v_dot2c_f32_f16_e32 v19, v114, v119
	;; [unrolled: 1-line block ×32, first 2 shown]
	ds_read_b128 v[114:117], v85 offset:5632
	ds_read_b128 v[118:121], v86 offset:22016
	;; [unrolled: 1-line block ×3, first 2 shown]
	s_waitcnt lgkmcnt(1)
	v_dot2c_f32_f16_e32 v78, v114, v118
	v_dot2c_f32_f16_e32 v79, v114, v119
	;; [unrolled: 1-line block ×16, first 2 shown]
	s_waitcnt lgkmcnt(0)
	v_dot2c_f32_f16_e32 v74, v114, v122
	v_dot2c_f32_f16_e32 v75, v114, v123
	;; [unrolled: 1-line block ×16, first 2 shown]
	ds_read_b128 v[114:117], v85 offset:5888
	s_waitcnt lgkmcnt(0)
	v_dot2c_f32_f16_e32 v18, v114, v118
	v_dot2c_f32_f16_e32 v19, v114, v119
	;; [unrolled: 1-line block ×32, first 2 shown]
	ds_read_b128 v[114:117], v85 offset:6144
	ds_read_b128 v[118:121], v86 offset:22528
	;; [unrolled: 1-line block ×3, first 2 shown]
	s_waitcnt lgkmcnt(1)
	v_dot2c_f32_f16_e32 v78, v114, v118
	v_dot2c_f32_f16_e32 v79, v114, v119
	v_dot2c_f32_f16_e32 v76, v114, v120
	v_dot2c_f32_f16_e32 v77, v114, v121
	v_dot2c_f32_f16_e32 v66, v115, v118
	v_dot2c_f32_f16_e32 v67, v115, v119
	v_dot2c_f32_f16_e32 v64, v115, v120
	v_dot2c_f32_f16_e32 v65, v115, v121
	v_dot2c_f32_f16_e32 v62, v116, v118
	v_dot2c_f32_f16_e32 v63, v116, v119
	v_dot2c_f32_f16_e32 v60, v116, v120
	v_dot2c_f32_f16_e32 v61, v116, v121
	v_dot2c_f32_f16_e32 v50, v117, v118
	v_dot2c_f32_f16_e32 v51, v117, v119
	v_dot2c_f32_f16_e32 v48, v117, v120
	v_dot2c_f32_f16_e32 v49, v117, v121
	s_waitcnt lgkmcnt(0)
	v_dot2c_f32_f16_e32 v74, v114, v122
	v_dot2c_f32_f16_e32 v75, v114, v123
	;; [unrolled: 1-line block ×16, first 2 shown]
	ds_read_b128 v[114:117], v85 offset:6400
	s_waitcnt lgkmcnt(0)
	v_dot2c_f32_f16_e32 v18, v114, v118
	v_dot2c_f32_f16_e32 v19, v114, v119
	;; [unrolled: 1-line block ×32, first 2 shown]
	ds_read_b128 v[114:117], v85 offset:6656
	ds_read_b128 v[118:121], v86 offset:23040
	;; [unrolled: 1-line block ×3, first 2 shown]
	s_waitcnt lgkmcnt(1)
	v_dot2c_f32_f16_e32 v78, v114, v118
	v_dot2c_f32_f16_e32 v79, v114, v119
	;; [unrolled: 1-line block ×16, first 2 shown]
	s_waitcnt lgkmcnt(0)
	v_dot2c_f32_f16_e32 v74, v114, v122
	v_dot2c_f32_f16_e32 v75, v114, v123
	;; [unrolled: 1-line block ×16, first 2 shown]
	ds_read_b128 v[114:117], v85 offset:6912
	s_waitcnt lgkmcnt(0)
	v_dot2c_f32_f16_e32 v18, v114, v118
	v_dot2c_f32_f16_e32 v19, v114, v119
	;; [unrolled: 1-line block ×32, first 2 shown]
	ds_read_b128 v[114:117], v85 offset:7168
	ds_read_b128 v[118:121], v86 offset:23552
	;; [unrolled: 1-line block ×3, first 2 shown]
	s_waitcnt lgkmcnt(1)
	v_dot2c_f32_f16_e32 v78, v114, v118
	v_dot2c_f32_f16_e32 v79, v114, v119
	;; [unrolled: 1-line block ×16, first 2 shown]
	s_waitcnt lgkmcnt(0)
	v_dot2c_f32_f16_e32 v74, v114, v122
	v_dot2c_f32_f16_e32 v75, v114, v123
	;; [unrolled: 1-line block ×16, first 2 shown]
	ds_read_b128 v[114:117], v85 offset:7424
	s_waitcnt lgkmcnt(0)
	v_dot2c_f32_f16_e32 v18, v114, v118
	v_dot2c_f32_f16_e32 v19, v114, v119
	;; [unrolled: 1-line block ×32, first 2 shown]
	ds_read_b128 v[114:117], v85 offset:7680
	ds_read_b128 v[118:121], v86 offset:24064
	;; [unrolled: 1-line block ×3, first 2 shown]
	s_waitcnt lgkmcnt(1)
	v_dot2c_f32_f16_e32 v78, v114, v118
	v_dot2c_f32_f16_e32 v79, v114, v119
	;; [unrolled: 1-line block ×16, first 2 shown]
	s_waitcnt lgkmcnt(0)
	v_dot2c_f32_f16_e32 v74, v114, v122
	v_dot2c_f32_f16_e32 v75, v114, v123
	;; [unrolled: 1-line block ×16, first 2 shown]
	ds_read_b128 v[114:117], v85 offset:7936
	s_waitcnt lgkmcnt(0)
	v_dot2c_f32_f16_e32 v30, v115, v118
	v_dot2c_f32_f16_e32 v31, v115, v119
	;; [unrolled: 1-line block ×8, first 2 shown]
	v_cndmask_b32_e64 v115, 0, v0, s[4:5]
	v_mul_hi_u32 v0, s50, v105
	v_add_u32_e32 v0, v82, v0
	v_dot2c_f32_f16_e32 v34, v116, v118
	v_dot2c_f32_f16_e32 v35, v116, v119
	;; [unrolled: 1-line block ×8, first 2 shown]
	v_lshrrev_b32_e32 v116, s49, v0
	v_dot2c_f32_f16_e32 v18, v114, v118
	v_dot2c_f32_f16_e32 v19, v114, v119
	v_dot2c_f32_f16_e32 v16, v114, v120
	v_dot2c_f32_f16_e32 v17, v114, v121
	v_dot2c_f32_f16_e32 v22, v114, v122
	v_dot2c_f32_f16_e32 v23, v114, v123
	v_dot2c_f32_f16_e32 v20, v114, v124
	v_dot2c_f32_f16_e32 v21, v114, v125
	v_cndmask_b32_e64 v114, 0, v1, s[4:5]
	v_mad_u64_u32 v[0:1], s[4:5], s60, v116, v[82:83]
	v_sub_u32_e32 v1, v0, v80
	v_mul_hi_u32 v80, s50, v104
	v_add_u32_e32 v80, v112, v80
	v_lshrrev_b32_e32 v80, s49, v80
	v_mul_lo_u32 v110, s60, v80
	v_add_u32_e32 v113, v112, v110
	v_sub_u32_e32 v111, v116, v111
	v_sub_u32_e32 v0, v113, v0
	v_mul_lo_u32 v113, v111, s42
	v_mul_lo_u32 v1, v1, s14
	;; [unrolled: 1-line block ×3, first 2 shown]
	ds_write2st64_b32 v87, v4, v5 offset0:96 offset1:98
	ds_write2st64_b32 v87, v6, v7 offset0:100 offset1:102
	;; [unrolled: 1-line block ×8, first 2 shown]
	v_sub_u32_e32 v2, v80, v116
	v_add3_u32 v1, v1, v111, v81
	v_mul_lo_u32 v111, v2, s42
	v_mul_lo_u32 v0, v0, s14
	;; [unrolled: 1-line block ×3, first 2 shown]
	v_add3_u32 v81, v0, v2, v1
	v_lshlrev_b32_e32 v0, 1, v1
	v_add_u32_e32 v1, v97, v96
	v_add_u32_e32 v2, v95, v96
	v_lshlrev_b32_e32 v3, 1, v81
	v_dot2c_f32_f16_e32 v40, v117, v118
	v_dot2c_f32_f16_e32 v41, v117, v119
	;; [unrolled: 1-line block ×8, first 2 shown]
	buffer_load_dwordx4 v[12:15], v1, s[28:31], 0 offen
	buffer_load_dwordx4 v[8:11], v2, s[28:31], 0 offen
	buffer_load_dwordx4 v[4:7], v0, s[20:23], 0 offen
	s_nop 0
	buffer_load_dwordx4 v[0:3], v3, s[20:23], 0 offen
	s_waitcnt lgkmcnt(0)
	s_barrier
	ds_read_b128 v[114:117], v85 offset:8192
	ds_read_b128 v[118:121], v86 offset:24576
	;; [unrolled: 1-line block ×3, first 2 shown]
	v_cmp_gt_i32_e64 s[4:5], s54, v92
	s_and_b64 s[4:5], s[2:3], s[4:5]
	v_add_u32_e32 v92, s57, v92
	s_waitcnt lgkmcnt(1)
	v_dot2c_f32_f16_e32 v78, v114, v118
	v_dot2c_f32_f16_e32 v79, v114, v119
	;; [unrolled: 1-line block ×16, first 2 shown]
	s_waitcnt lgkmcnt(0)
	v_dot2c_f32_f16_e32 v74, v114, v122
	v_dot2c_f32_f16_e32 v75, v114, v123
	;; [unrolled: 1-line block ×16, first 2 shown]
	ds_read_b128 v[114:117], v85 offset:8448
	v_add_u32_e32 v96, s58, v96
	v_add_u32_e32 v105, s59, v105
	;; [unrolled: 1-line block ×3, first 2 shown]
	s_waitcnt lgkmcnt(0)
	v_dot2c_f32_f16_e32 v18, v114, v118
	v_dot2c_f32_f16_e32 v19, v114, v119
	;; [unrolled: 1-line block ×32, first 2 shown]
	ds_read_b128 v[114:117], v85 offset:8704
	ds_read_b128 v[118:121], v86 offset:25088
	;; [unrolled: 1-line block ×3, first 2 shown]
	s_waitcnt vmcnt(3)
	v_cndmask_b32_e64 v15, 0, v15, s[4:5]
	v_cndmask_b32_e64 v14, 0, v14, s[4:5]
	v_cndmask_b32_e64 v13, 0, v13, s[4:5]
	s_waitcnt lgkmcnt(1)
	v_dot2c_f32_f16_e32 v78, v114, v118
	v_dot2c_f32_f16_e32 v79, v114, v119
	;; [unrolled: 1-line block ×16, first 2 shown]
	s_waitcnt lgkmcnt(0)
	v_dot2c_f32_f16_e32 v74, v114, v122
	v_dot2c_f32_f16_e32 v75, v114, v123
	;; [unrolled: 1-line block ×16, first 2 shown]
	ds_read_b128 v[114:117], v85 offset:8960
	v_cndmask_b32_e64 v12, 0, v12, s[4:5]
	v_cmp_gt_i32_e64 s[4:5], s54, v91
	s_and_b64 s[4:5], s[2:3], s[4:5]
	v_add_u32_e32 v91, s57, v91
	s_waitcnt lgkmcnt(0)
	v_dot2c_f32_f16_e32 v18, v114, v118
	v_dot2c_f32_f16_e32 v19, v114, v119
	;; [unrolled: 1-line block ×32, first 2 shown]
	ds_read_b128 v[114:117], v85 offset:9216
	ds_read_b128 v[118:121], v86 offset:25600
	;; [unrolled: 1-line block ×3, first 2 shown]
	s_waitcnt vmcnt(2)
	v_cndmask_b32_e64 v11, 0, v11, s[4:5]
	v_cndmask_b32_e64 v10, 0, v10, s[4:5]
	;; [unrolled: 1-line block ×3, first 2 shown]
	s_waitcnt lgkmcnt(1)
	v_dot2c_f32_f16_e32 v78, v114, v118
	v_dot2c_f32_f16_e32 v79, v114, v119
	;; [unrolled: 1-line block ×16, first 2 shown]
	s_waitcnt lgkmcnt(0)
	v_dot2c_f32_f16_e32 v74, v114, v122
	v_dot2c_f32_f16_e32 v75, v114, v123
	;; [unrolled: 1-line block ×16, first 2 shown]
	ds_read_b128 v[114:117], v85 offset:9472
	v_cndmask_b32_e64 v8, 0, v8, s[4:5]
	v_cmp_gt_i32_e64 s[4:5], s53, v82
	v_add_u32_e32 v82, v113, v109
	v_cmp_gt_i32_e64 s[8:9], s18, v82
	s_waitcnt lgkmcnt(0)
	v_dot2c_f32_f16_e32 v18, v114, v118
	v_dot2c_f32_f16_e32 v19, v114, v119
	;; [unrolled: 1-line block ×32, first 2 shown]
	ds_read_b128 v[114:117], v85 offset:9728
	ds_read_b128 v[118:121], v86 offset:26112
	;; [unrolled: 1-line block ×3, first 2 shown]
	v_cmp_le_i32_e64 s[6:7], s47, v82
	s_and_b64 s[4:5], s[8:9], s[4:5]
	s_and_b64 s[4:5], s[4:5], s[6:7]
	s_waitcnt lgkmcnt(1)
	v_dot2c_f32_f16_e32 v78, v114, v118
	v_dot2c_f32_f16_e32 v79, v114, v119
	;; [unrolled: 1-line block ×16, first 2 shown]
	s_waitcnt lgkmcnt(0)
	v_dot2c_f32_f16_e32 v74, v114, v122
	v_dot2c_f32_f16_e32 v75, v114, v123
	;; [unrolled: 1-line block ×16, first 2 shown]
	ds_read_b128 v[114:117], v85 offset:9984
	s_and_b64 s[4:5], vcc, s[4:5]
	v_add_u32_e32 v109, v111, v82
	s_waitcnt vmcnt(1)
	v_cndmask_b32_e64 v7, 0, v7, s[4:5]
	v_cndmask_b32_e64 v6, 0, v6, s[4:5]
	s_waitcnt lgkmcnt(0)
	v_dot2c_f32_f16_e32 v18, v114, v118
	v_dot2c_f32_f16_e32 v19, v114, v119
	;; [unrolled: 1-line block ×32, first 2 shown]
	ds_read_b128 v[114:117], v85 offset:10240
	ds_read_b128 v[118:121], v86 offset:26624
	ds_read_b128 v[122:125], v86 offset:26880
	v_cndmask_b32_e64 v5, 0, v5, s[4:5]
	v_cndmask_b32_e64 v4, 0, v4, s[4:5]
	v_cmp_gt_i32_e64 s[4:5], s53, v112
	s_waitcnt lgkmcnt(1)
	v_dot2c_f32_f16_e32 v78, v114, v118
	v_dot2c_f32_f16_e32 v79, v114, v119
	;; [unrolled: 1-line block ×16, first 2 shown]
	s_waitcnt lgkmcnt(0)
	v_dot2c_f32_f16_e32 v74, v114, v122
	v_dot2c_f32_f16_e32 v75, v114, v123
	;; [unrolled: 1-line block ×16, first 2 shown]
	ds_read_b128 v[114:117], v85 offset:10496
	v_cmp_gt_i32_e64 s[8:9], s18, v109
	v_cmp_le_i32_e64 s[6:7], s47, v109
	s_and_b64 s[4:5], s[8:9], s[4:5]
	s_and_b64 s[4:5], s[4:5], s[6:7]
	s_waitcnt lgkmcnt(0)
	v_dot2c_f32_f16_e32 v18, v114, v118
	v_dot2c_f32_f16_e32 v19, v114, v119
	;; [unrolled: 1-line block ×32, first 2 shown]
	ds_read_b128 v[114:117], v85 offset:10752
	ds_read_b128 v[118:121], v86 offset:27136
	;; [unrolled: 1-line block ×3, first 2 shown]
	s_and_b64 s[4:5], vcc, s[4:5]
	s_waitcnt vmcnt(0)
	v_cndmask_b32_e64 v3, 0, v3, s[4:5]
	v_cndmask_b32_e64 v2, 0, v2, s[4:5]
	s_waitcnt lgkmcnt(1)
	v_dot2c_f32_f16_e32 v78, v114, v118
	v_dot2c_f32_f16_e32 v79, v114, v119
	;; [unrolled: 1-line block ×16, first 2 shown]
	s_waitcnt lgkmcnt(0)
	v_dot2c_f32_f16_e32 v74, v114, v122
	v_dot2c_f32_f16_e32 v75, v114, v123
	;; [unrolled: 1-line block ×16, first 2 shown]
	ds_read_b128 v[114:117], v85 offset:11008
	v_cndmask_b32_e64 v1, 0, v1, s[4:5]
	v_cndmask_b32_e64 v0, 0, v0, s[4:5]
	s_add_i32 s4, s43, s39
	s_add_i32 s5, s12, s10
	s_waitcnt lgkmcnt(0)
	v_dot2c_f32_f16_e32 v18, v114, v118
	v_dot2c_f32_f16_e32 v19, v114, v119
	;; [unrolled: 1-line block ×32, first 2 shown]
	ds_read_b128 v[114:117], v85 offset:11264
	ds_read_b128 v[118:121], v86 offset:27648
	;; [unrolled: 1-line block ×3, first 2 shown]
	s_add_i32 s4, s4, s4
	s_add_i32 s5, s5, s5
	v_add_u32_e32 v108, s4, v108
	s_waitcnt lgkmcnt(1)
	v_dot2c_f32_f16_e32 v78, v114, v118
	v_dot2c_f32_f16_e32 v79, v114, v119
	;; [unrolled: 1-line block ×16, first 2 shown]
	s_waitcnt lgkmcnt(0)
	v_dot2c_f32_f16_e32 v74, v114, v122
	v_dot2c_f32_f16_e32 v75, v114, v123
	;; [unrolled: 1-line block ×16, first 2 shown]
	ds_read_b128 v[114:117], v85 offset:11520
	v_add_u32_e32 v90, s5, v90
	s_cmp_lt_i32 s61, s16
	s_waitcnt lgkmcnt(0)
	v_dot2c_f32_f16_e32 v18, v114, v118
	v_dot2c_f32_f16_e32 v19, v114, v119
	;; [unrolled: 1-line block ×32, first 2 shown]
	ds_read_b128 v[114:117], v85 offset:11776
	ds_read_b128 v[118:121], v86 offset:28160
	;; [unrolled: 1-line block ×3, first 2 shown]
	s_waitcnt lgkmcnt(1)
	v_dot2c_f32_f16_e32 v78, v114, v118
	v_dot2c_f32_f16_e32 v79, v114, v119
	;; [unrolled: 1-line block ×16, first 2 shown]
	s_waitcnt lgkmcnt(0)
	v_dot2c_f32_f16_e32 v74, v114, v122
	v_dot2c_f32_f16_e32 v75, v114, v123
	;; [unrolled: 1-line block ×16, first 2 shown]
	ds_read_b128 v[114:117], v85 offset:12032
	s_waitcnt lgkmcnt(0)
	v_dot2c_f32_f16_e32 v18, v114, v118
	v_dot2c_f32_f16_e32 v19, v114, v119
	;; [unrolled: 1-line block ×32, first 2 shown]
	ds_read_b128 v[114:117], v85 offset:12288
	ds_read_b128 v[118:121], v86 offset:28672
	ds_read_b128 v[122:125], v86 offset:28928
	s_waitcnt lgkmcnt(1)
	v_dot2c_f32_f16_e32 v78, v114, v118
	v_dot2c_f32_f16_e32 v79, v114, v119
	;; [unrolled: 1-line block ×16, first 2 shown]
	s_waitcnt lgkmcnt(0)
	v_dot2c_f32_f16_e32 v74, v114, v122
	v_dot2c_f32_f16_e32 v75, v114, v123
	;; [unrolled: 1-line block ×16, first 2 shown]
	ds_read_b128 v[114:117], v85 offset:12544
	s_waitcnt lgkmcnt(0)
	v_dot2c_f32_f16_e32 v18, v114, v118
	v_dot2c_f32_f16_e32 v19, v114, v119
	;; [unrolled: 1-line block ×32, first 2 shown]
	ds_read_b128 v[114:117], v85 offset:12800
	ds_read_b128 v[118:121], v86 offset:29184
	;; [unrolled: 1-line block ×3, first 2 shown]
	s_waitcnt lgkmcnt(1)
	v_dot2c_f32_f16_e32 v78, v114, v118
	v_dot2c_f32_f16_e32 v79, v114, v119
	v_dot2c_f32_f16_e32 v76, v114, v120
	v_dot2c_f32_f16_e32 v77, v114, v121
	v_dot2c_f32_f16_e32 v66, v115, v118
	v_dot2c_f32_f16_e32 v67, v115, v119
	v_dot2c_f32_f16_e32 v64, v115, v120
	v_dot2c_f32_f16_e32 v65, v115, v121
	v_dot2c_f32_f16_e32 v62, v116, v118
	v_dot2c_f32_f16_e32 v63, v116, v119
	v_dot2c_f32_f16_e32 v60, v116, v120
	v_dot2c_f32_f16_e32 v61, v116, v121
	v_dot2c_f32_f16_e32 v50, v117, v118
	v_dot2c_f32_f16_e32 v51, v117, v119
	v_dot2c_f32_f16_e32 v48, v117, v120
	v_dot2c_f32_f16_e32 v49, v117, v121
	s_waitcnt lgkmcnt(0)
	v_dot2c_f32_f16_e32 v74, v114, v122
	v_dot2c_f32_f16_e32 v75, v114, v123
	;; [unrolled: 1-line block ×16, first 2 shown]
	ds_read_b128 v[114:117], v85 offset:13056
	s_waitcnt lgkmcnt(0)
	v_dot2c_f32_f16_e32 v18, v114, v118
	v_dot2c_f32_f16_e32 v19, v114, v119
	;; [unrolled: 1-line block ×32, first 2 shown]
	ds_read_b128 v[114:117], v85 offset:13312
	ds_read_b128 v[118:121], v86 offset:29696
	;; [unrolled: 1-line block ×3, first 2 shown]
	s_waitcnt lgkmcnt(1)
	v_dot2c_f32_f16_e32 v78, v114, v118
	v_dot2c_f32_f16_e32 v79, v114, v119
	;; [unrolled: 1-line block ×16, first 2 shown]
	s_waitcnt lgkmcnt(0)
	v_dot2c_f32_f16_e32 v74, v114, v122
	v_dot2c_f32_f16_e32 v75, v114, v123
	;; [unrolled: 1-line block ×16, first 2 shown]
	ds_read_b128 v[114:117], v85 offset:13568
	s_waitcnt lgkmcnt(0)
	v_dot2c_f32_f16_e32 v18, v114, v118
	v_dot2c_f32_f16_e32 v19, v114, v119
	;; [unrolled: 1-line block ×32, first 2 shown]
	ds_read_b128 v[114:117], v85 offset:13824
	ds_read_b128 v[118:121], v86 offset:30208
	;; [unrolled: 1-line block ×3, first 2 shown]
	s_waitcnt lgkmcnt(1)
	v_dot2c_f32_f16_e32 v78, v114, v118
	v_dot2c_f32_f16_e32 v79, v114, v119
	;; [unrolled: 1-line block ×16, first 2 shown]
	s_waitcnt lgkmcnt(0)
	v_dot2c_f32_f16_e32 v74, v114, v122
	v_dot2c_f32_f16_e32 v75, v114, v123
	;; [unrolled: 1-line block ×16, first 2 shown]
	ds_read_b128 v[114:117], v85 offset:14080
	s_waitcnt lgkmcnt(0)
	v_dot2c_f32_f16_e32 v18, v114, v118
	v_dot2c_f32_f16_e32 v19, v114, v119
	;; [unrolled: 1-line block ×32, first 2 shown]
	ds_read_b128 v[114:117], v85 offset:14336
	ds_read_b128 v[118:121], v86 offset:30720
	;; [unrolled: 1-line block ×3, first 2 shown]
	s_waitcnt lgkmcnt(1)
	v_dot2c_f32_f16_e32 v78, v114, v118
	v_dot2c_f32_f16_e32 v79, v114, v119
	;; [unrolled: 1-line block ×16, first 2 shown]
	s_waitcnt lgkmcnt(0)
	v_dot2c_f32_f16_e32 v74, v114, v122
	v_dot2c_f32_f16_e32 v75, v114, v123
	;; [unrolled: 1-line block ×16, first 2 shown]
	ds_read_b128 v[114:117], v85 offset:14592
	s_waitcnt lgkmcnt(0)
	v_dot2c_f32_f16_e32 v18, v114, v118
	v_dot2c_f32_f16_e32 v19, v114, v119
	;; [unrolled: 1-line block ×32, first 2 shown]
	ds_read_b128 v[114:117], v85 offset:14848
	ds_read_b128 v[118:121], v86 offset:31232
	ds_read_b128 v[122:125], v86 offset:31488
	s_waitcnt lgkmcnt(1)
	v_dot2c_f32_f16_e32 v78, v114, v118
	v_dot2c_f32_f16_e32 v79, v114, v119
	;; [unrolled: 1-line block ×16, first 2 shown]
	s_waitcnt lgkmcnt(0)
	v_dot2c_f32_f16_e32 v74, v114, v122
	v_dot2c_f32_f16_e32 v75, v114, v123
	;; [unrolled: 1-line block ×16, first 2 shown]
	ds_read_b128 v[114:117], v85 offset:15104
	s_waitcnt lgkmcnt(0)
	v_dot2c_f32_f16_e32 v18, v114, v118
	v_dot2c_f32_f16_e32 v19, v114, v119
	;; [unrolled: 1-line block ×32, first 2 shown]
	ds_read_b128 v[114:117], v85 offset:15360
	ds_read_b128 v[118:121], v86 offset:31744
	;; [unrolled: 1-line block ×3, first 2 shown]
	s_waitcnt lgkmcnt(1)
	v_dot2c_f32_f16_e32 v78, v114, v118
	v_dot2c_f32_f16_e32 v79, v114, v119
	;; [unrolled: 1-line block ×16, first 2 shown]
	s_waitcnt lgkmcnt(0)
	v_dot2c_f32_f16_e32 v74, v114, v122
	v_dot2c_f32_f16_e32 v75, v114, v123
	;; [unrolled: 1-line block ×16, first 2 shown]
	ds_read_b128 v[114:117], v85 offset:15616
	s_waitcnt lgkmcnt(0)
	v_dot2c_f32_f16_e32 v18, v114, v118
	v_dot2c_f32_f16_e32 v19, v114, v119
	;; [unrolled: 1-line block ×32, first 2 shown]
	ds_read_b128 v[114:117], v85 offset:15872
	ds_read_b128 v[118:121], v86 offset:32256
	;; [unrolled: 1-line block ×3, first 2 shown]
	s_waitcnt lgkmcnt(1)
	v_dot2c_f32_f16_e32 v78, v114, v118
	v_dot2c_f32_f16_e32 v79, v114, v119
	v_dot2c_f32_f16_e32 v76, v114, v120
	v_dot2c_f32_f16_e32 v77, v114, v121
	v_dot2c_f32_f16_e32 v66, v115, v118
	v_dot2c_f32_f16_e32 v67, v115, v119
	v_dot2c_f32_f16_e32 v64, v115, v120
	v_dot2c_f32_f16_e32 v65, v115, v121
	v_dot2c_f32_f16_e32 v62, v116, v118
	v_dot2c_f32_f16_e32 v63, v116, v119
	v_dot2c_f32_f16_e32 v60, v116, v120
	v_dot2c_f32_f16_e32 v61, v116, v121
	v_dot2c_f32_f16_e32 v50, v117, v118
	v_dot2c_f32_f16_e32 v51, v117, v119
	v_dot2c_f32_f16_e32 v48, v117, v120
	v_dot2c_f32_f16_e32 v49, v117, v121
	s_waitcnt lgkmcnt(0)
	v_dot2c_f32_f16_e32 v74, v114, v122
	v_dot2c_f32_f16_e32 v75, v114, v123
	;; [unrolled: 1-line block ×16, first 2 shown]
	ds_read_b128 v[114:117], v85 offset:16128
	ds_write2st64_b32 v87, v12, v13 offset0:64 offset1:66
	ds_write2st64_b32 v87, v14, v15 offset0:68 offset1:70
	;; [unrolled: 1-line block ×4, first 2 shown]
	ds_write2st64_b32 v87, v4, v5 offset1:2
	ds_write2st64_b32 v87, v6, v7 offset0:4 offset1:6
	ds_write2st64_b32 v87, v0, v1 offset0:8 offset1:10
	ds_write2st64_b32 v87, v2, v3 offset0:12 offset1:14
	v_mul_lo_u32 v0, v80, s48
	v_sub_u32_e32 v1, v108, v0
	s_waitcnt lgkmcnt(8)
	v_dot2c_f32_f16_e32 v18, v114, v118
	v_dot2c_f32_f16_e32 v19, v114, v119
	;; [unrolled: 1-line block ×32, first 2 shown]
	s_cbranch_scc1 .LBB1_1
; %bb.2:
	s_mul_i32 s4, s26, s52
	s_mul_hi_u32 s5, s26, s51
	s_add_i32 s4, s5, s4
	s_mul_i32 s5, s27, s51
	s_add_i32 s5, s4, s5
	s_mul_i32 s4, s26, s51
	s_lshl_b64 s[4:5], s[4:5], 1
	s_load_dwordx2 s[0:1], s[0:1], 0x10
	s_add_u32 s16, s44, s4
	s_addc_u32 s44, s45, s5
	s_mul_i32 s4, s24, s52
	s_mul_hi_u32 s5, s24, s51
	s_add_i32 s4, s5, s4
	s_mul_i32 s5, s25, s51
	s_add_i32 s5, s4, s5
	s_mul_i32 s4, s24, s51
	s_lshl_b64 s[4:5], s[4:5], 1
	s_waitcnt lgkmcnt(0)
	s_add_u32 s24, s0, s4
	s_addc_u32 s25, s1, s5
	s_add_i32 s39, s39, s11
	v_add_u32_e32 v2, s39, v88
	v_mul_hi_u32 v0, v2, s50
	v_add_u32_e32 v0, v2, v0
	v_lshrrev_b32_e32 v3, s49, v0
	v_mul_lo_u32 v0, v3, s48
	v_add3_u32 v1, v88, v110, s11
	v_sub_u32_e32 v0, v2, v0
	v_sub_u32_e32 v4, v3, v80
	v_sub_u32_e32 v1, v0, v1
	v_mul_lo_u32 v80, v4, s42
	v_mul_lo_u32 v4, v80, s13
	;; [unrolled: 1-line block ×3, first 2 shown]
	v_add_u32_e32 v108, s43, v2
	v_add3_u32 v81, v1, v4, v81
	v_add_u32_e32 v82, s10, v90
	v_mul_hi_u32 v8, v108, s50
	v_add_u32_e32 v1, v82, v89
	v_lshlrev_b32_e32 v4, 1, v81
	v_add_u32_e32 v8, v108, v8
	s_waitcnt lgkmcnt(0)
	s_barrier
	buffer_load_dwordx4 v[12:15], v4, s[20:23], 0 offen
	v_lshlrev_b32_e32 v4, 1, v1
	v_lshrrev_b32_e32 v88, s49, v8
	v_add_lshl_u32 v1, v1, s12, 1
	buffer_load_dwordx4 v[4:7], v4, s[28:31], 0 offen
	v_cmp_gt_i32_e64 s[6:7], s53, v2
	buffer_load_dwordx4 v[8:11], v1, s[28:31], 0 offen
	v_mad_u64_u32 v[0:1], s[0:1], v88, s48, v[0:1]
	v_sub_u32_e32 v1, v108, v0
	v_sub_u32_e32 v0, v88, v3
	v_mul_lo_u32 v3, v0, s42
	v_mul_lo_u32 v0, v3, s13
	v_mad_u64_u32 v[0:1], s[0:1], v1, s14, v[0:1]
	v_add_lshl_u32 v0, v0, v81, 1
	buffer_load_dwordx4 v[88:91], v0, s[20:23], 0 offen
	v_add_u32_e32 v0, s12, v82
	v_cmp_gt_i32_e64 s[4:5], s54, v0
	v_add_u32_e32 v0, v80, v109
	ds_read_b128 v[92:95], v86 offset:16384
	ds_read_b128 v[96:99], v86 offset:16640
	ds_read_b128 v[100:103], v85
	ds_read_b128 v[104:107], v85 offset:256
	v_cmp_le_i32_e64 s[10:11], s47, v0
	v_cmp_gt_i32_e64 s[12:13], s18, v0
	v_add_u32_e32 v0, v3, v0
	v_cmp_gt_i32_e64 s[0:1], s54, v82
	v_cmp_gt_i32_e64 s[8:9], s53, v108
	s_and_b64 s[20:21], s[12:13], s[6:7]
	v_cmp_gt_i32_e64 s[12:13], s18, v0
	v_cmp_le_i32_e64 s[6:7], s47, v0
	s_and_b64 s[8:9], s[12:13], s[8:9]
	s_and_b64 s[0:1], s[2:3], s[0:1]
	;; [unrolled: 1-line block ×4, first 2 shown]
	s_waitcnt lgkmcnt(1)
	v_dot2c_f32_f16_e32 v78, v100, v92
	v_dot2c_f32_f16_e32 v79, v100, v93
	;; [unrolled: 1-line block ×32, first 2 shown]
	s_waitcnt lgkmcnt(0)
	v_dot2c_f32_f16_e32 v18, v104, v92
	v_dot2c_f32_f16_e32 v19, v104, v93
	v_dot2c_f32_f16_e32 v16, v104, v94
	v_dot2c_f32_f16_e32 v17, v104, v95
	v_dot2c_f32_f16_e32 v30, v105, v92
	v_dot2c_f32_f16_e32 v31, v105, v93
	v_dot2c_f32_f16_e32 v28, v105, v94
	v_dot2c_f32_f16_e32 v29, v105, v95
	v_dot2c_f32_f16_e32 v34, v106, v92
	v_dot2c_f32_f16_e32 v35, v106, v93
	v_dot2c_f32_f16_e32 v32, v106, v94
	v_dot2c_f32_f16_e32 v33, v106, v95
	v_dot2c_f32_f16_e32 v40, v107, v92
	v_dot2c_f32_f16_e32 v41, v107, v93
	v_dot2c_f32_f16_e32 v46, v107, v94
	v_dot2c_f32_f16_e32 v47, v107, v95
	ds_read_b128 v[92:95], v86 offset:16896
	v_dot2c_f32_f16_e32 v22, v104, v96
	v_dot2c_f32_f16_e32 v23, v104, v97
	s_waitcnt vmcnt(2)
	v_cndmask_b32_e64 v0, 0, v7, s[0:1]
	v_cndmask_b32_e64 v1, 0, v6, s[0:1]
	;; [unrolled: 1-line block ×4, first 2 shown]
	s_and_b64 s[0:1], s[2:3], s[4:5]
	s_waitcnt vmcnt(1)
	v_cndmask_b32_e64 v3, 0, v11, s[0:1]
	v_cndmask_b32_e64 v5, 0, v10, s[0:1]
	;; [unrolled: 1-line block ×4, first 2 shown]
	s_and_b64 s[0:1], vcc, s[10:11]
	s_and_b64 vcc, vcc, s[6:7]
	v_cndmask_b32_e64 v8, 0, v15, s[0:1]
	v_cndmask_b32_e64 v9, 0, v14, s[0:1]
	;; [unrolled: 1-line block ×3, first 2 shown]
	s_waitcnt vmcnt(0)
	v_cndmask_b32_e32 v11, 0, v91, vcc
	v_cndmask_b32_e32 v13, 0, v90, vcc
	;; [unrolled: 1-line block ×4, first 2 shown]
	ds_read_b128 v[88:91], v85 offset:512
	v_dot2c_f32_f16_e32 v20, v104, v98
	v_dot2c_f32_f16_e32 v21, v104, v99
	;; [unrolled: 1-line block ×14, first 2 shown]
	ds_read_b128 v[96:99], v86 offset:17152
	ds_read_b128 v[100:103], v85 offset:768
	s_waitcnt lgkmcnt(2)
	v_dot2c_f32_f16_e32 v78, v88, v92
	v_dot2c_f32_f16_e32 v79, v88, v93
	;; [unrolled: 1-line block ×16, first 2 shown]
	s_waitcnt lgkmcnt(1)
	v_dot2c_f32_f16_e32 v74, v88, v96
	v_dot2c_f32_f16_e32 v75, v88, v97
	;; [unrolled: 1-line block ×16, first 2 shown]
	ds_read_b128 v[88:91], v85 offset:1024
	s_waitcnt lgkmcnt(1)
	v_dot2c_f32_f16_e32 v18, v100, v92
	v_dot2c_f32_f16_e32 v19, v100, v93
	;; [unrolled: 1-line block ×16, first 2 shown]
	ds_read_b128 v[92:95], v86 offset:17408
	v_dot2c_f32_f16_e32 v22, v100, v96
	v_dot2c_f32_f16_e32 v23, v100, v97
	;; [unrolled: 1-line block ×16, first 2 shown]
	ds_read_b128 v[96:99], v86 offset:17664
	ds_read_b128 v[100:103], v85 offset:1280
	s_waitcnt lgkmcnt(2)
	v_dot2c_f32_f16_e32 v78, v88, v92
	v_dot2c_f32_f16_e32 v79, v88, v93
	v_dot2c_f32_f16_e32 v76, v88, v94
	v_dot2c_f32_f16_e32 v77, v88, v95
	v_dot2c_f32_f16_e32 v66, v89, v92
	v_dot2c_f32_f16_e32 v67, v89, v93
	v_dot2c_f32_f16_e32 v64, v89, v94
	v_dot2c_f32_f16_e32 v65, v89, v95
	v_dot2c_f32_f16_e32 v62, v90, v92
	v_dot2c_f32_f16_e32 v63, v90, v93
	v_dot2c_f32_f16_e32 v60, v90, v94
	v_dot2c_f32_f16_e32 v61, v90, v95
	v_dot2c_f32_f16_e32 v50, v91, v92
	v_dot2c_f32_f16_e32 v51, v91, v93
	v_dot2c_f32_f16_e32 v48, v91, v94
	v_dot2c_f32_f16_e32 v49, v91, v95
	s_waitcnt lgkmcnt(1)
	v_dot2c_f32_f16_e32 v74, v88, v96
	v_dot2c_f32_f16_e32 v75, v88, v97
	;; [unrolled: 1-line block ×16, first 2 shown]
	ds_read_b128 v[88:91], v85 offset:1536
	s_waitcnt lgkmcnt(1)
	v_dot2c_f32_f16_e32 v18, v100, v92
	v_dot2c_f32_f16_e32 v19, v100, v93
	;; [unrolled: 1-line block ×16, first 2 shown]
	ds_read_b128 v[92:95], v86 offset:17920
	v_dot2c_f32_f16_e32 v22, v100, v96
	v_dot2c_f32_f16_e32 v23, v100, v97
	;; [unrolled: 1-line block ×16, first 2 shown]
	ds_read_b128 v[96:99], v86 offset:18176
	ds_read_b128 v[100:103], v85 offset:1792
	s_waitcnt lgkmcnt(2)
	v_dot2c_f32_f16_e32 v78, v88, v92
	v_dot2c_f32_f16_e32 v79, v88, v93
	;; [unrolled: 1-line block ×16, first 2 shown]
	s_waitcnt lgkmcnt(1)
	v_dot2c_f32_f16_e32 v74, v88, v96
	v_dot2c_f32_f16_e32 v75, v88, v97
	v_dot2c_f32_f16_e32 v72, v88, v98
	v_dot2c_f32_f16_e32 v73, v88, v99
	v_dot2c_f32_f16_e32 v70, v89, v96
	v_dot2c_f32_f16_e32 v71, v89, v97
	v_dot2c_f32_f16_e32 v68, v89, v98
	v_dot2c_f32_f16_e32 v69, v89, v99
	v_dot2c_f32_f16_e32 v58, v90, v96
	v_dot2c_f32_f16_e32 v59, v90, v97
	v_dot2c_f32_f16_e32 v56, v90, v98
	v_dot2c_f32_f16_e32 v57, v90, v99
	v_dot2c_f32_f16_e32 v54, v91, v96
	v_dot2c_f32_f16_e32 v55, v91, v97
	v_dot2c_f32_f16_e32 v52, v91, v98
	v_dot2c_f32_f16_e32 v53, v91, v99
	ds_read_b128 v[88:91], v85 offset:2048
	s_waitcnt lgkmcnt(1)
	v_dot2c_f32_f16_e32 v18, v100, v92
	v_dot2c_f32_f16_e32 v19, v100, v93
	;; [unrolled: 1-line block ×16, first 2 shown]
	ds_read_b128 v[92:95], v86 offset:18432
	v_dot2c_f32_f16_e32 v22, v100, v96
	v_dot2c_f32_f16_e32 v23, v100, v97
	;; [unrolled: 1-line block ×16, first 2 shown]
	ds_read_b128 v[96:99], v86 offset:18688
	ds_read_b128 v[100:103], v85 offset:2304
	s_waitcnt lgkmcnt(2)
	v_dot2c_f32_f16_e32 v78, v88, v92
	v_dot2c_f32_f16_e32 v79, v88, v93
	v_dot2c_f32_f16_e32 v76, v88, v94
	v_dot2c_f32_f16_e32 v77, v88, v95
	v_dot2c_f32_f16_e32 v66, v89, v92
	v_dot2c_f32_f16_e32 v67, v89, v93
	v_dot2c_f32_f16_e32 v64, v89, v94
	v_dot2c_f32_f16_e32 v65, v89, v95
	v_dot2c_f32_f16_e32 v62, v90, v92
	v_dot2c_f32_f16_e32 v63, v90, v93
	v_dot2c_f32_f16_e32 v60, v90, v94
	v_dot2c_f32_f16_e32 v61, v90, v95
	v_dot2c_f32_f16_e32 v50, v91, v92
	v_dot2c_f32_f16_e32 v51, v91, v93
	v_dot2c_f32_f16_e32 v48, v91, v94
	v_dot2c_f32_f16_e32 v49, v91, v95
	s_waitcnt lgkmcnt(1)
	v_dot2c_f32_f16_e32 v74, v88, v96
	v_dot2c_f32_f16_e32 v75, v88, v97
	;; [unrolled: 1-line block ×16, first 2 shown]
	ds_read_b128 v[88:91], v85 offset:2560
	s_waitcnt lgkmcnt(1)
	v_dot2c_f32_f16_e32 v18, v100, v92
	v_dot2c_f32_f16_e32 v19, v100, v93
	;; [unrolled: 1-line block ×16, first 2 shown]
	ds_read_b128 v[92:95], v86 offset:18944
	v_dot2c_f32_f16_e32 v22, v100, v96
	v_dot2c_f32_f16_e32 v23, v100, v97
	;; [unrolled: 1-line block ×16, first 2 shown]
	ds_read_b128 v[96:99], v86 offset:19200
	ds_read_b128 v[100:103], v85 offset:2816
	s_waitcnt lgkmcnt(2)
	v_dot2c_f32_f16_e32 v78, v88, v92
	v_dot2c_f32_f16_e32 v79, v88, v93
	;; [unrolled: 1-line block ×16, first 2 shown]
	s_waitcnt lgkmcnt(1)
	v_dot2c_f32_f16_e32 v74, v88, v96
	v_dot2c_f32_f16_e32 v75, v88, v97
	;; [unrolled: 1-line block ×16, first 2 shown]
	ds_read_b128 v[88:91], v85 offset:3072
	s_waitcnt lgkmcnt(1)
	v_dot2c_f32_f16_e32 v18, v100, v92
	v_dot2c_f32_f16_e32 v19, v100, v93
	;; [unrolled: 1-line block ×16, first 2 shown]
	ds_read_b128 v[92:95], v86 offset:19456
	v_dot2c_f32_f16_e32 v22, v100, v96
	v_dot2c_f32_f16_e32 v23, v100, v97
	;; [unrolled: 1-line block ×16, first 2 shown]
	ds_read_b128 v[96:99], v86 offset:19712
	ds_read_b128 v[100:103], v85 offset:3328
	s_waitcnt lgkmcnt(2)
	v_dot2c_f32_f16_e32 v78, v88, v92
	v_dot2c_f32_f16_e32 v79, v88, v93
	;; [unrolled: 1-line block ×16, first 2 shown]
	s_waitcnt lgkmcnt(1)
	v_dot2c_f32_f16_e32 v74, v88, v96
	v_dot2c_f32_f16_e32 v75, v88, v97
	;; [unrolled: 1-line block ×16, first 2 shown]
	ds_read_b128 v[88:91], v85 offset:3584
	s_waitcnt lgkmcnt(1)
	v_dot2c_f32_f16_e32 v18, v100, v92
	v_dot2c_f32_f16_e32 v19, v100, v93
	;; [unrolled: 1-line block ×16, first 2 shown]
	ds_read_b128 v[92:95], v86 offset:19968
	v_dot2c_f32_f16_e32 v22, v100, v96
	v_dot2c_f32_f16_e32 v23, v100, v97
	v_dot2c_f32_f16_e32 v20, v100, v98
	v_dot2c_f32_f16_e32 v21, v100, v99
	v_dot2c_f32_f16_e32 v26, v101, v96
	v_dot2c_f32_f16_e32 v27, v101, v97
	v_dot2c_f32_f16_e32 v24, v101, v98
	v_dot2c_f32_f16_e32 v25, v101, v99
	v_dot2c_f32_f16_e32 v38, v102, v96
	v_dot2c_f32_f16_e32 v39, v102, v97
	v_dot2c_f32_f16_e32 v36, v102, v98
	v_dot2c_f32_f16_e32 v37, v102, v99
	v_dot2c_f32_f16_e32 v44, v103, v96
	v_dot2c_f32_f16_e32 v45, v103, v97
	v_dot2c_f32_f16_e32 v42, v103, v98
	v_dot2c_f32_f16_e32 v43, v103, v99
	ds_read_b128 v[96:99], v86 offset:20224
	ds_read_b128 v[100:103], v85 offset:3840
	s_waitcnt lgkmcnt(2)
	v_dot2c_f32_f16_e32 v78, v88, v92
	v_dot2c_f32_f16_e32 v79, v88, v93
	;; [unrolled: 1-line block ×16, first 2 shown]
	s_waitcnt lgkmcnt(1)
	v_dot2c_f32_f16_e32 v74, v88, v96
	v_dot2c_f32_f16_e32 v75, v88, v97
	;; [unrolled: 1-line block ×16, first 2 shown]
	ds_read_b128 v[88:91], v85 offset:4096
	s_waitcnt lgkmcnt(1)
	v_dot2c_f32_f16_e32 v18, v100, v92
	v_dot2c_f32_f16_e32 v19, v100, v93
	;; [unrolled: 1-line block ×16, first 2 shown]
	ds_read_b128 v[92:95], v86 offset:20480
	v_dot2c_f32_f16_e32 v22, v100, v96
	v_dot2c_f32_f16_e32 v23, v100, v97
	;; [unrolled: 1-line block ×16, first 2 shown]
	ds_read_b128 v[96:99], v86 offset:20736
	ds_read_b128 v[100:103], v85 offset:4352
	s_waitcnt lgkmcnt(2)
	v_dot2c_f32_f16_e32 v78, v88, v92
	v_dot2c_f32_f16_e32 v79, v88, v93
	;; [unrolled: 1-line block ×16, first 2 shown]
	s_waitcnt lgkmcnt(1)
	v_dot2c_f32_f16_e32 v74, v88, v96
	v_dot2c_f32_f16_e32 v75, v88, v97
	;; [unrolled: 1-line block ×16, first 2 shown]
	ds_read_b128 v[88:91], v85 offset:4608
	s_waitcnt lgkmcnt(1)
	v_dot2c_f32_f16_e32 v18, v100, v92
	v_dot2c_f32_f16_e32 v19, v100, v93
	;; [unrolled: 1-line block ×16, first 2 shown]
	ds_read_b128 v[92:95], v86 offset:20992
	v_dot2c_f32_f16_e32 v22, v100, v96
	v_dot2c_f32_f16_e32 v23, v100, v97
	;; [unrolled: 1-line block ×16, first 2 shown]
	ds_read_b128 v[96:99], v86 offset:21248
	ds_read_b128 v[100:103], v85 offset:4864
	s_waitcnt lgkmcnt(2)
	v_dot2c_f32_f16_e32 v78, v88, v92
	v_dot2c_f32_f16_e32 v79, v88, v93
	;; [unrolled: 1-line block ×16, first 2 shown]
	s_waitcnt lgkmcnt(1)
	v_dot2c_f32_f16_e32 v74, v88, v96
	v_dot2c_f32_f16_e32 v75, v88, v97
	v_dot2c_f32_f16_e32 v72, v88, v98
	v_dot2c_f32_f16_e32 v73, v88, v99
	v_dot2c_f32_f16_e32 v70, v89, v96
	v_dot2c_f32_f16_e32 v71, v89, v97
	v_dot2c_f32_f16_e32 v68, v89, v98
	v_dot2c_f32_f16_e32 v69, v89, v99
	v_dot2c_f32_f16_e32 v58, v90, v96
	v_dot2c_f32_f16_e32 v59, v90, v97
	v_dot2c_f32_f16_e32 v56, v90, v98
	v_dot2c_f32_f16_e32 v57, v90, v99
	v_dot2c_f32_f16_e32 v54, v91, v96
	v_dot2c_f32_f16_e32 v55, v91, v97
	v_dot2c_f32_f16_e32 v52, v91, v98
	v_dot2c_f32_f16_e32 v53, v91, v99
	ds_read_b128 v[88:91], v85 offset:5120
	s_waitcnt lgkmcnt(1)
	v_dot2c_f32_f16_e32 v18, v100, v92
	v_dot2c_f32_f16_e32 v19, v100, v93
	;; [unrolled: 1-line block ×16, first 2 shown]
	ds_read_b128 v[92:95], v86 offset:21504
	v_dot2c_f32_f16_e32 v22, v100, v96
	v_dot2c_f32_f16_e32 v23, v100, v97
	v_dot2c_f32_f16_e32 v20, v100, v98
	v_dot2c_f32_f16_e32 v21, v100, v99
	v_dot2c_f32_f16_e32 v26, v101, v96
	v_dot2c_f32_f16_e32 v27, v101, v97
	v_dot2c_f32_f16_e32 v24, v101, v98
	v_dot2c_f32_f16_e32 v25, v101, v99
	v_dot2c_f32_f16_e32 v38, v102, v96
	v_dot2c_f32_f16_e32 v39, v102, v97
	v_dot2c_f32_f16_e32 v36, v102, v98
	v_dot2c_f32_f16_e32 v37, v102, v99
	v_dot2c_f32_f16_e32 v44, v103, v96
	v_dot2c_f32_f16_e32 v45, v103, v97
	v_dot2c_f32_f16_e32 v42, v103, v98
	v_dot2c_f32_f16_e32 v43, v103, v99
	ds_read_b128 v[96:99], v86 offset:21760
	ds_read_b128 v[100:103], v85 offset:5376
	s_waitcnt lgkmcnt(2)
	v_dot2c_f32_f16_e32 v78, v88, v92
	v_dot2c_f32_f16_e32 v79, v88, v93
	;; [unrolled: 1-line block ×16, first 2 shown]
	s_waitcnt lgkmcnt(1)
	v_dot2c_f32_f16_e32 v74, v88, v96
	v_dot2c_f32_f16_e32 v75, v88, v97
	;; [unrolled: 1-line block ×16, first 2 shown]
	ds_read_b128 v[88:91], v85 offset:5632
	s_waitcnt lgkmcnt(1)
	v_dot2c_f32_f16_e32 v18, v100, v92
	v_dot2c_f32_f16_e32 v19, v100, v93
	v_dot2c_f32_f16_e32 v16, v100, v94
	v_dot2c_f32_f16_e32 v17, v100, v95
	v_dot2c_f32_f16_e32 v30, v101, v92
	v_dot2c_f32_f16_e32 v31, v101, v93
	v_dot2c_f32_f16_e32 v28, v101, v94
	v_dot2c_f32_f16_e32 v29, v101, v95
	v_dot2c_f32_f16_e32 v34, v102, v92
	v_dot2c_f32_f16_e32 v35, v102, v93
	v_dot2c_f32_f16_e32 v32, v102, v94
	v_dot2c_f32_f16_e32 v33, v102, v95
	v_dot2c_f32_f16_e32 v40, v103, v92
	v_dot2c_f32_f16_e32 v41, v103, v93
	v_dot2c_f32_f16_e32 v46, v103, v94
	v_dot2c_f32_f16_e32 v47, v103, v95
	ds_read_b128 v[92:95], v86 offset:22016
	v_dot2c_f32_f16_e32 v22, v100, v96
	v_dot2c_f32_f16_e32 v23, v100, v97
	;; [unrolled: 1-line block ×16, first 2 shown]
	ds_read_b128 v[96:99], v86 offset:22272
	ds_read_b128 v[100:103], v85 offset:5888
	s_waitcnt lgkmcnt(2)
	v_dot2c_f32_f16_e32 v78, v88, v92
	v_dot2c_f32_f16_e32 v79, v88, v93
	;; [unrolled: 1-line block ×16, first 2 shown]
	s_waitcnt lgkmcnt(1)
	v_dot2c_f32_f16_e32 v74, v88, v96
	v_dot2c_f32_f16_e32 v75, v88, v97
	;; [unrolled: 1-line block ×16, first 2 shown]
	ds_read_b128 v[88:91], v85 offset:6144
	s_waitcnt lgkmcnt(1)
	v_dot2c_f32_f16_e32 v18, v100, v92
	v_dot2c_f32_f16_e32 v19, v100, v93
	;; [unrolled: 1-line block ×16, first 2 shown]
	ds_read_b128 v[92:95], v86 offset:22528
	v_dot2c_f32_f16_e32 v22, v100, v96
	v_dot2c_f32_f16_e32 v23, v100, v97
	;; [unrolled: 1-line block ×16, first 2 shown]
	ds_read_b128 v[96:99], v86 offset:22784
	ds_read_b128 v[100:103], v85 offset:6400
	s_waitcnt lgkmcnt(2)
	v_dot2c_f32_f16_e32 v78, v88, v92
	v_dot2c_f32_f16_e32 v79, v88, v93
	;; [unrolled: 1-line block ×16, first 2 shown]
	s_waitcnt lgkmcnt(1)
	v_dot2c_f32_f16_e32 v74, v88, v96
	v_dot2c_f32_f16_e32 v75, v88, v97
	;; [unrolled: 1-line block ×16, first 2 shown]
	ds_read_b128 v[88:91], v85 offset:6656
	s_waitcnt lgkmcnt(1)
	v_dot2c_f32_f16_e32 v18, v100, v92
	v_dot2c_f32_f16_e32 v19, v100, v93
	;; [unrolled: 1-line block ×16, first 2 shown]
	ds_read_b128 v[92:95], v86 offset:23040
	v_dot2c_f32_f16_e32 v22, v100, v96
	v_dot2c_f32_f16_e32 v23, v100, v97
	;; [unrolled: 1-line block ×16, first 2 shown]
	ds_read_b128 v[96:99], v86 offset:23296
	ds_read_b128 v[100:103], v85 offset:6912
	s_waitcnt lgkmcnt(2)
	v_dot2c_f32_f16_e32 v78, v88, v92
	v_dot2c_f32_f16_e32 v79, v88, v93
	;; [unrolled: 1-line block ×16, first 2 shown]
	s_waitcnt lgkmcnt(1)
	v_dot2c_f32_f16_e32 v74, v88, v96
	v_dot2c_f32_f16_e32 v75, v88, v97
	v_dot2c_f32_f16_e32 v72, v88, v98
	v_dot2c_f32_f16_e32 v73, v88, v99
	v_dot2c_f32_f16_e32 v70, v89, v96
	v_dot2c_f32_f16_e32 v71, v89, v97
	v_dot2c_f32_f16_e32 v68, v89, v98
	v_dot2c_f32_f16_e32 v69, v89, v99
	v_dot2c_f32_f16_e32 v58, v90, v96
	v_dot2c_f32_f16_e32 v59, v90, v97
	v_dot2c_f32_f16_e32 v56, v90, v98
	v_dot2c_f32_f16_e32 v57, v90, v99
	v_dot2c_f32_f16_e32 v54, v91, v96
	v_dot2c_f32_f16_e32 v55, v91, v97
	v_dot2c_f32_f16_e32 v52, v91, v98
	v_dot2c_f32_f16_e32 v53, v91, v99
	ds_read_b128 v[88:91], v85 offset:7168
	s_waitcnt lgkmcnt(1)
	v_dot2c_f32_f16_e32 v18, v100, v92
	v_dot2c_f32_f16_e32 v19, v100, v93
	;; [unrolled: 1-line block ×16, first 2 shown]
	ds_read_b128 v[92:95], v86 offset:23552
	v_dot2c_f32_f16_e32 v22, v100, v96
	v_dot2c_f32_f16_e32 v23, v100, v97
	;; [unrolled: 1-line block ×16, first 2 shown]
	ds_read_b128 v[96:99], v86 offset:23808
	ds_read_b128 v[100:103], v85 offset:7424
	v_cndmask_b32_e64 v12, 0, v12, s[0:1]
	s_waitcnt lgkmcnt(2)
	v_dot2c_f32_f16_e32 v78, v88, v92
	v_dot2c_f32_f16_e32 v79, v88, v93
	;; [unrolled: 1-line block ×16, first 2 shown]
	s_waitcnt lgkmcnt(1)
	v_dot2c_f32_f16_e32 v74, v88, v96
	v_dot2c_f32_f16_e32 v75, v88, v97
	;; [unrolled: 1-line block ×16, first 2 shown]
	ds_read_b128 v[88:91], v85 offset:7680
	s_waitcnt lgkmcnt(1)
	v_dot2c_f32_f16_e32 v18, v100, v92
	v_dot2c_f32_f16_e32 v19, v100, v93
	;; [unrolled: 1-line block ×16, first 2 shown]
	ds_read_b128 v[92:95], v86 offset:24064
	v_dot2c_f32_f16_e32 v22, v100, v96
	v_dot2c_f32_f16_e32 v23, v100, v97
	;; [unrolled: 1-line block ×16, first 2 shown]
	ds_read_b128 v[96:99], v86 offset:24320
	ds_read_b128 v[100:103], v85 offset:7936
	ds_write2st64_b32 v87, v12, v10 offset0:32 offset1:34
	ds_write2st64_b32 v87, v9, v8 offset0:36 offset1:38
	;; [unrolled: 1-line block ×8, first 2 shown]
	s_waitcnt lgkmcnt(0)
	s_barrier
	ds_read_b128 v[0:3], v85 offset:8192
	ds_read_b128 v[4:7], v86 offset:24576
	;; [unrolled: 1-line block ×4, first 2 shown]
	v_dot2c_f32_f16_e32 v78, v88, v92
	v_dot2c_f32_f16_e32 v79, v88, v93
	;; [unrolled: 1-line block ×64, first 2 shown]
	s_waitcnt lgkmcnt(2)
	v_dot2c_f32_f16_e32 v78, v0, v4
	v_dot2c_f32_f16_e32 v79, v0, v5
	v_dot2c_f32_f16_e32 v76, v0, v6
	v_dot2c_f32_f16_e32 v77, v0, v7
	v_dot2c_f32_f16_e32 v66, v1, v4
	v_dot2c_f32_f16_e32 v67, v1, v5
	v_dot2c_f32_f16_e32 v64, v1, v6
	v_dot2c_f32_f16_e32 v65, v1, v7
	v_dot2c_f32_f16_e32 v62, v2, v4
	v_dot2c_f32_f16_e32 v63, v2, v5
	v_dot2c_f32_f16_e32 v60, v2, v6
	v_dot2c_f32_f16_e32 v61, v2, v7
	v_dot2c_f32_f16_e32 v50, v3, v4
	v_dot2c_f32_f16_e32 v51, v3, v5
	v_dot2c_f32_f16_e32 v48, v3, v6
	v_dot2c_f32_f16_e32 v49, v3, v7
	s_waitcnt lgkmcnt(1)
	v_dot2c_f32_f16_e32 v74, v0, v8
	v_dot2c_f32_f16_e32 v75, v0, v9
	v_dot2c_f32_f16_e32 v72, v0, v10
	v_dot2c_f32_f16_e32 v73, v0, v11
	v_dot2c_f32_f16_e32 v70, v1, v8
	v_dot2c_f32_f16_e32 v71, v1, v9
	v_dot2c_f32_f16_e32 v68, v1, v10
	v_dot2c_f32_f16_e32 v69, v1, v11
	v_dot2c_f32_f16_e32 v58, v2, v8
	v_dot2c_f32_f16_e32 v59, v2, v9
	v_dot2c_f32_f16_e32 v56, v2, v10
	v_dot2c_f32_f16_e32 v57, v2, v11
	v_dot2c_f32_f16_e32 v54, v3, v8
	v_dot2c_f32_f16_e32 v55, v3, v9
	v_dot2c_f32_f16_e32 v52, v3, v10
	v_dot2c_f32_f16_e32 v53, v3, v11
	ds_read_b128 v[0:3], v85 offset:8704
	s_waitcnt lgkmcnt(1)
	v_dot2c_f32_f16_e32 v18, v12, v4
	v_dot2c_f32_f16_e32 v19, v12, v5
	;; [unrolled: 1-line block ×16, first 2 shown]
	ds_read_b128 v[4:7], v86 offset:25088
	v_dot2c_f32_f16_e32 v22, v12, v8
	v_dot2c_f32_f16_e32 v23, v12, v9
	;; [unrolled: 1-line block ×16, first 2 shown]
	ds_read_b128 v[8:11], v86 offset:25344
	ds_read_b128 v[12:15], v85 offset:8960
	s_waitcnt lgkmcnt(2)
	v_dot2c_f32_f16_e32 v78, v0, v4
	v_dot2c_f32_f16_e32 v79, v0, v5
	;; [unrolled: 1-line block ×16, first 2 shown]
	s_waitcnt lgkmcnt(1)
	v_dot2c_f32_f16_e32 v74, v0, v8
	v_dot2c_f32_f16_e32 v75, v0, v9
	;; [unrolled: 1-line block ×16, first 2 shown]
	ds_read_b128 v[0:3], v85 offset:9216
	s_waitcnt lgkmcnt(1)
	v_dot2c_f32_f16_e32 v18, v12, v4
	v_dot2c_f32_f16_e32 v19, v12, v5
	;; [unrolled: 1-line block ×16, first 2 shown]
	ds_read_b128 v[4:7], v86 offset:25600
	v_dot2c_f32_f16_e32 v22, v12, v8
	v_dot2c_f32_f16_e32 v23, v12, v9
	;; [unrolled: 1-line block ×16, first 2 shown]
	ds_read_b128 v[8:11], v86 offset:25856
	ds_read_b128 v[12:15], v85 offset:9472
	s_waitcnt lgkmcnt(2)
	v_dot2c_f32_f16_e32 v78, v0, v4
	v_dot2c_f32_f16_e32 v79, v0, v5
	;; [unrolled: 1-line block ×16, first 2 shown]
	s_waitcnt lgkmcnt(1)
	v_dot2c_f32_f16_e32 v74, v0, v8
	v_dot2c_f32_f16_e32 v75, v0, v9
	;; [unrolled: 1-line block ×16, first 2 shown]
	ds_read_b128 v[0:3], v85 offset:9728
	s_waitcnt lgkmcnt(1)
	v_dot2c_f32_f16_e32 v18, v12, v4
	v_dot2c_f32_f16_e32 v19, v12, v5
	;; [unrolled: 1-line block ×16, first 2 shown]
	ds_read_b128 v[4:7], v86 offset:26112
	v_dot2c_f32_f16_e32 v22, v12, v8
	v_dot2c_f32_f16_e32 v23, v12, v9
	;; [unrolled: 1-line block ×16, first 2 shown]
	ds_read_b128 v[8:11], v86 offset:26368
	ds_read_b128 v[12:15], v85 offset:9984
	s_waitcnt lgkmcnt(2)
	v_dot2c_f32_f16_e32 v78, v0, v4
	v_dot2c_f32_f16_e32 v79, v0, v5
	;; [unrolled: 1-line block ×16, first 2 shown]
	s_waitcnt lgkmcnt(1)
	v_dot2c_f32_f16_e32 v74, v0, v8
	v_dot2c_f32_f16_e32 v75, v0, v9
	;; [unrolled: 1-line block ×16, first 2 shown]
	ds_read_b128 v[0:3], v85 offset:10240
	s_waitcnt lgkmcnt(1)
	v_dot2c_f32_f16_e32 v18, v12, v4
	v_dot2c_f32_f16_e32 v19, v12, v5
	;; [unrolled: 1-line block ×16, first 2 shown]
	ds_read_b128 v[4:7], v86 offset:26624
	v_dot2c_f32_f16_e32 v22, v12, v8
	v_dot2c_f32_f16_e32 v23, v12, v9
	;; [unrolled: 1-line block ×16, first 2 shown]
	ds_read_b128 v[8:11], v86 offset:26880
	ds_read_b128 v[12:15], v85 offset:10496
	s_waitcnt lgkmcnt(2)
	v_dot2c_f32_f16_e32 v78, v0, v4
	v_dot2c_f32_f16_e32 v79, v0, v5
	;; [unrolled: 1-line block ×16, first 2 shown]
	s_waitcnt lgkmcnt(1)
	v_dot2c_f32_f16_e32 v74, v0, v8
	v_dot2c_f32_f16_e32 v75, v0, v9
	;; [unrolled: 1-line block ×16, first 2 shown]
	ds_read_b128 v[0:3], v85 offset:10752
	s_waitcnt lgkmcnt(1)
	v_dot2c_f32_f16_e32 v18, v12, v4
	v_dot2c_f32_f16_e32 v19, v12, v5
	v_dot2c_f32_f16_e32 v16, v12, v6
	v_dot2c_f32_f16_e32 v17, v12, v7
	v_dot2c_f32_f16_e32 v30, v13, v4
	v_dot2c_f32_f16_e32 v31, v13, v5
	v_dot2c_f32_f16_e32 v28, v13, v6
	v_dot2c_f32_f16_e32 v29, v13, v7
	v_dot2c_f32_f16_e32 v34, v14, v4
	v_dot2c_f32_f16_e32 v35, v14, v5
	v_dot2c_f32_f16_e32 v32, v14, v6
	v_dot2c_f32_f16_e32 v33, v14, v7
	v_dot2c_f32_f16_e32 v40, v15, v4
	v_dot2c_f32_f16_e32 v41, v15, v5
	v_dot2c_f32_f16_e32 v46, v15, v6
	v_dot2c_f32_f16_e32 v47, v15, v7
	ds_read_b128 v[4:7], v86 offset:27136
	v_dot2c_f32_f16_e32 v22, v12, v8
	v_dot2c_f32_f16_e32 v23, v12, v9
	;; [unrolled: 1-line block ×16, first 2 shown]
	ds_read_b128 v[8:11], v86 offset:27392
	ds_read_b128 v[12:15], v85 offset:11008
	s_waitcnt lgkmcnt(2)
	v_dot2c_f32_f16_e32 v78, v0, v4
	v_dot2c_f32_f16_e32 v79, v0, v5
	;; [unrolled: 1-line block ×16, first 2 shown]
	s_waitcnt lgkmcnt(1)
	v_dot2c_f32_f16_e32 v74, v0, v8
	v_dot2c_f32_f16_e32 v75, v0, v9
	;; [unrolled: 1-line block ×16, first 2 shown]
	ds_read_b128 v[0:3], v85 offset:11264
	s_waitcnt lgkmcnt(1)
	v_dot2c_f32_f16_e32 v18, v12, v4
	v_dot2c_f32_f16_e32 v19, v12, v5
	;; [unrolled: 1-line block ×16, first 2 shown]
	ds_read_b128 v[4:7], v86 offset:27648
	v_dot2c_f32_f16_e32 v22, v12, v8
	v_dot2c_f32_f16_e32 v23, v12, v9
	v_dot2c_f32_f16_e32 v20, v12, v10
	v_dot2c_f32_f16_e32 v21, v12, v11
	v_dot2c_f32_f16_e32 v26, v13, v8
	v_dot2c_f32_f16_e32 v27, v13, v9
	v_dot2c_f32_f16_e32 v24, v13, v10
	v_dot2c_f32_f16_e32 v25, v13, v11
	v_dot2c_f32_f16_e32 v38, v14, v8
	v_dot2c_f32_f16_e32 v39, v14, v9
	v_dot2c_f32_f16_e32 v36, v14, v10
	v_dot2c_f32_f16_e32 v37, v14, v11
	v_dot2c_f32_f16_e32 v44, v15, v8
	v_dot2c_f32_f16_e32 v45, v15, v9
	v_dot2c_f32_f16_e32 v42, v15, v10
	v_dot2c_f32_f16_e32 v43, v15, v11
	ds_read_b128 v[8:11], v86 offset:27904
	ds_read_b128 v[12:15], v85 offset:11520
	s_waitcnt lgkmcnt(2)
	v_dot2c_f32_f16_e32 v78, v0, v4
	v_dot2c_f32_f16_e32 v79, v0, v5
	;; [unrolled: 1-line block ×16, first 2 shown]
	s_waitcnt lgkmcnt(1)
	v_dot2c_f32_f16_e32 v74, v0, v8
	v_dot2c_f32_f16_e32 v75, v0, v9
	;; [unrolled: 1-line block ×16, first 2 shown]
	ds_read_b128 v[0:3], v85 offset:11776
	s_waitcnt lgkmcnt(1)
	v_dot2c_f32_f16_e32 v18, v12, v4
	v_dot2c_f32_f16_e32 v19, v12, v5
	;; [unrolled: 1-line block ×16, first 2 shown]
	ds_read_b128 v[4:7], v86 offset:28160
	v_dot2c_f32_f16_e32 v22, v12, v8
	v_dot2c_f32_f16_e32 v23, v12, v9
	;; [unrolled: 1-line block ×16, first 2 shown]
	ds_read_b128 v[8:11], v86 offset:28416
	ds_read_b128 v[12:15], v85 offset:12032
	s_waitcnt lgkmcnt(2)
	v_dot2c_f32_f16_e32 v78, v0, v4
	v_dot2c_f32_f16_e32 v79, v0, v5
	;; [unrolled: 1-line block ×16, first 2 shown]
	s_waitcnt lgkmcnt(1)
	v_dot2c_f32_f16_e32 v74, v0, v8
	v_dot2c_f32_f16_e32 v75, v0, v9
	;; [unrolled: 1-line block ×16, first 2 shown]
	ds_read_b128 v[0:3], v85 offset:12288
	s_waitcnt lgkmcnt(1)
	v_dot2c_f32_f16_e32 v18, v12, v4
	v_dot2c_f32_f16_e32 v19, v12, v5
	;; [unrolled: 1-line block ×16, first 2 shown]
	ds_read_b128 v[4:7], v86 offset:28672
	v_dot2c_f32_f16_e32 v22, v12, v8
	v_dot2c_f32_f16_e32 v23, v12, v9
	;; [unrolled: 1-line block ×16, first 2 shown]
	ds_read_b128 v[8:11], v86 offset:28928
	ds_read_b128 v[12:15], v85 offset:12544
	s_waitcnt lgkmcnt(2)
	v_dot2c_f32_f16_e32 v78, v0, v4
	v_dot2c_f32_f16_e32 v79, v0, v5
	;; [unrolled: 1-line block ×16, first 2 shown]
	s_waitcnt lgkmcnt(1)
	v_dot2c_f32_f16_e32 v74, v0, v8
	v_dot2c_f32_f16_e32 v75, v0, v9
	;; [unrolled: 1-line block ×16, first 2 shown]
	ds_read_b128 v[0:3], v85 offset:12800
	s_waitcnt lgkmcnt(1)
	v_dot2c_f32_f16_e32 v18, v12, v4
	v_dot2c_f32_f16_e32 v19, v12, v5
	;; [unrolled: 1-line block ×16, first 2 shown]
	ds_read_b128 v[4:7], v86 offset:29184
	v_dot2c_f32_f16_e32 v22, v12, v8
	v_dot2c_f32_f16_e32 v23, v12, v9
	v_dot2c_f32_f16_e32 v20, v12, v10
	v_dot2c_f32_f16_e32 v21, v12, v11
	v_dot2c_f32_f16_e32 v26, v13, v8
	v_dot2c_f32_f16_e32 v27, v13, v9
	v_dot2c_f32_f16_e32 v24, v13, v10
	v_dot2c_f32_f16_e32 v25, v13, v11
	v_dot2c_f32_f16_e32 v38, v14, v8
	v_dot2c_f32_f16_e32 v39, v14, v9
	v_dot2c_f32_f16_e32 v36, v14, v10
	v_dot2c_f32_f16_e32 v37, v14, v11
	v_dot2c_f32_f16_e32 v44, v15, v8
	v_dot2c_f32_f16_e32 v45, v15, v9
	v_dot2c_f32_f16_e32 v42, v15, v10
	v_dot2c_f32_f16_e32 v43, v15, v11
	ds_read_b128 v[8:11], v86 offset:29440
	ds_read_b128 v[12:15], v85 offset:13056
	s_waitcnt lgkmcnt(2)
	v_dot2c_f32_f16_e32 v78, v0, v4
	v_dot2c_f32_f16_e32 v79, v0, v5
	;; [unrolled: 1-line block ×16, first 2 shown]
	s_waitcnt lgkmcnt(1)
	v_dot2c_f32_f16_e32 v74, v0, v8
	v_dot2c_f32_f16_e32 v75, v0, v9
	;; [unrolled: 1-line block ×16, first 2 shown]
	ds_read_b128 v[0:3], v85 offset:13312
	s_waitcnt lgkmcnt(1)
	v_dot2c_f32_f16_e32 v18, v12, v4
	v_dot2c_f32_f16_e32 v19, v12, v5
	;; [unrolled: 1-line block ×16, first 2 shown]
	ds_read_b128 v[4:7], v86 offset:29696
	v_dot2c_f32_f16_e32 v22, v12, v8
	v_dot2c_f32_f16_e32 v23, v12, v9
	;; [unrolled: 1-line block ×16, first 2 shown]
	ds_read_b128 v[8:11], v86 offset:29952
	ds_read_b128 v[12:15], v85 offset:13568
	s_waitcnt lgkmcnt(2)
	v_dot2c_f32_f16_e32 v78, v0, v4
	v_dot2c_f32_f16_e32 v79, v0, v5
	;; [unrolled: 1-line block ×16, first 2 shown]
	s_waitcnt lgkmcnt(1)
	v_dot2c_f32_f16_e32 v74, v0, v8
	v_dot2c_f32_f16_e32 v75, v0, v9
	;; [unrolled: 1-line block ×16, first 2 shown]
	ds_read_b128 v[0:3], v85 offset:13824
	s_waitcnt lgkmcnt(1)
	v_dot2c_f32_f16_e32 v18, v12, v4
	v_dot2c_f32_f16_e32 v19, v12, v5
	;; [unrolled: 1-line block ×16, first 2 shown]
	ds_read_b128 v[4:7], v86 offset:30208
	v_dot2c_f32_f16_e32 v22, v12, v8
	v_dot2c_f32_f16_e32 v23, v12, v9
	;; [unrolled: 1-line block ×16, first 2 shown]
	ds_read_b128 v[8:11], v86 offset:30464
	ds_read_b128 v[12:15], v85 offset:14080
	s_waitcnt lgkmcnt(2)
	v_dot2c_f32_f16_e32 v78, v0, v4
	v_dot2c_f32_f16_e32 v79, v0, v5
	;; [unrolled: 1-line block ×16, first 2 shown]
	s_waitcnt lgkmcnt(1)
	v_dot2c_f32_f16_e32 v74, v0, v8
	v_dot2c_f32_f16_e32 v75, v0, v9
	;; [unrolled: 1-line block ×16, first 2 shown]
	ds_read_b128 v[0:3], v85 offset:14336
	s_waitcnt lgkmcnt(1)
	v_dot2c_f32_f16_e32 v18, v12, v4
	v_dot2c_f32_f16_e32 v19, v12, v5
	;; [unrolled: 1-line block ×16, first 2 shown]
	ds_read_b128 v[4:7], v86 offset:30720
	v_dot2c_f32_f16_e32 v22, v12, v8
	v_dot2c_f32_f16_e32 v23, v12, v9
	;; [unrolled: 1-line block ×16, first 2 shown]
	ds_read_b128 v[8:11], v86 offset:30976
	ds_read_b128 v[12:15], v85 offset:14592
	s_waitcnt lgkmcnt(2)
	v_dot2c_f32_f16_e32 v78, v0, v4
	v_dot2c_f32_f16_e32 v79, v0, v5
	;; [unrolled: 1-line block ×16, first 2 shown]
	s_waitcnt lgkmcnt(1)
	v_dot2c_f32_f16_e32 v74, v0, v8
	v_dot2c_f32_f16_e32 v75, v0, v9
	;; [unrolled: 1-line block ×16, first 2 shown]
	ds_read_b128 v[0:3], v85 offset:14848
	s_waitcnt lgkmcnt(1)
	v_dot2c_f32_f16_e32 v18, v12, v4
	v_dot2c_f32_f16_e32 v19, v12, v5
	;; [unrolled: 1-line block ×16, first 2 shown]
	ds_read_b128 v[4:7], v86 offset:31232
	v_dot2c_f32_f16_e32 v22, v12, v8
	v_dot2c_f32_f16_e32 v23, v12, v9
	;; [unrolled: 1-line block ×16, first 2 shown]
	ds_read_b128 v[8:11], v86 offset:31488
	ds_read_b128 v[12:15], v85 offset:15104
	s_waitcnt lgkmcnt(2)
	v_dot2c_f32_f16_e32 v78, v0, v4
	v_dot2c_f32_f16_e32 v79, v0, v5
	;; [unrolled: 1-line block ×16, first 2 shown]
	s_waitcnt lgkmcnt(1)
	v_dot2c_f32_f16_e32 v74, v0, v8
	v_dot2c_f32_f16_e32 v75, v0, v9
	;; [unrolled: 1-line block ×16, first 2 shown]
	ds_read_b128 v[0:3], v85 offset:15360
	s_waitcnt lgkmcnt(1)
	v_dot2c_f32_f16_e32 v18, v12, v4
	v_dot2c_f32_f16_e32 v19, v12, v5
	;; [unrolled: 1-line block ×16, first 2 shown]
	ds_read_b128 v[4:7], v86 offset:31744
	v_dot2c_f32_f16_e32 v22, v12, v8
	v_dot2c_f32_f16_e32 v23, v12, v9
	;; [unrolled: 1-line block ×16, first 2 shown]
	ds_read_b128 v[8:11], v86 offset:32000
	ds_read_b128 v[12:15], v85 offset:15616
	s_waitcnt lgkmcnt(2)
	v_dot2c_f32_f16_e32 v78, v0, v4
	v_dot2c_f32_f16_e32 v79, v0, v5
	;; [unrolled: 1-line block ×16, first 2 shown]
	s_waitcnt lgkmcnt(1)
	v_dot2c_f32_f16_e32 v74, v0, v8
	v_dot2c_f32_f16_e32 v75, v0, v9
	;; [unrolled: 1-line block ×16, first 2 shown]
	ds_read_b128 v[88:91], v85 offset:15872
	ds_read_b128 v[0:3], v86 offset:32256
	s_waitcnt lgkmcnt(2)
	v_dot2c_f32_f16_e32 v18, v12, v4
	v_dot2c_f32_f16_e32 v19, v12, v5
	;; [unrolled: 1-line block ×32, first 2 shown]
	ds_read_b128 v[4:7], v86 offset:32512
	ds_read_b128 v[8:11], v85 offset:16128
	v_lshl_or_b32 v109, s37, 7, v84
	v_lshl_add_u32 v108, s46, 7, v83
	v_mul_lo_u32 v12, v109, s40
	v_mad_u64_u32 v[12:13], s[0:1], v108, s41, v[12:13]
	v_add_u32_e32 v84, s40, v12
	s_waitcnt lgkmcnt(2)
	v_dot2c_f32_f16_e32 v78, v88, v0
	v_dot2c_f32_f16_e32 v79, v88, v1
	;; [unrolled: 1-line block ×4, first 2 shown]
	s_waitcnt lgkmcnt(1)
	v_dot2c_f32_f16_e32 v74, v88, v4
	v_dot2c_f32_f16_e32 v75, v88, v5
	;; [unrolled: 1-line block ×4, first 2 shown]
	s_lshl_b32 s2, s41, 6
	v_add_u32_e32 v88, s40, v84
	s_lshl_b32 s26, s38, 1
	s_and_b32 s25, s25, 0xffff
	s_mov_b32 s27, 0x20000
	v_lshlrev_b32_e32 v13, 1, v12
	v_add_lshl_u32 v86, v88, s2, 1
	buffer_load_dwordx2 v[14:15], v13, s[24:27], 0 offen
	v_add_lshl_u32 v82, v84, s2, 1
	buffer_load_dwordx2 v[86:87], v86, s[24:27], 0 offen
	v_add_lshl_u32 v13, v12, s2, 1
	v_lshlrev_b32_e32 v12, 1, v84
	v_lshlrev_b32_e32 v84, 1, v88
	v_add_u32_e32 v88, s40, v88
	v_dot2c_f32_f16_e32 v66, v89, v0
	v_dot2c_f32_f16_e32 v67, v89, v1
	;; [unrolled: 1-line block ×8, first 2 shown]
	v_lshlrev_b32_e32 v89, 1, v88
	v_dot2c_f32_f16_e32 v62, v90, v0
	v_dot2c_f32_f16_e32 v63, v90, v1
	;; [unrolled: 1-line block ×16, first 2 shown]
	buffer_load_dwordx2 v[82:83], v82, s[24:27], 0 offen
	s_waitcnt lgkmcnt(0)
	v_dot2c_f32_f16_e32 v18, v8, v0
	buffer_load_dwordx2 v[90:91], v89, s[24:27], 0 offen
	v_add_lshl_u32 v89, v88, s2, 1
	buffer_load_dwordx2 v[80:81], v13, s[24:27], 0 offen
	buffer_load_dwordx2 v[92:93], v89, s[24:27], 0 offen
	v_mad_u64_u32 v[88:89], s[0:1], s40, 61, v[88:89]
	v_add_u32_e32 v100, s40, v88
	v_dot2c_f32_f16_e32 v30, v9, v0
	v_lshlrev_b32_e32 v89, 1, v88
	v_dot2c_f32_f16_e32 v34, v10, v0
	v_dot2c_f32_f16_e32 v40, v11, v0
	v_add_u32_e32 v0, s40, v100
	buffer_load_dwordx2 v[94:95], v89, s[24:27], 0 offen
	v_add_lshl_u32 v89, v88, s2, 1
	v_lshlrev_b32_e32 v88, 1, v100
	v_add_lshl_u32 v98, v100, s2, 1
	v_lshlrev_b32_e32 v100, 1, v0
	buffer_load_dwordx2 v[96:97], v89, s[24:27], 0 offen
	v_dot2c_f32_f16_e32 v19, v8, v1
	buffer_load_dwordx2 v[88:89], v88, s[24:27], 0 offen
	v_dot2c_f32_f16_e32 v31, v9, v1
	;; [unrolled: 2-line block ×4, first 2 shown]
	buffer_load_dwordx2 v[84:85], v84, s[24:27], 0 offen
	v_add_lshl_u32 v1, v0, s2, 1
	buffer_load_dwordx2 v[98:99], v98, s[24:27], 0 offen
	v_add_u32_e32 v0, s40, v0
	buffer_load_dwordx2 v[102:103], v1, s[24:27], 0 offen
	v_lshlrev_b32_e32 v1, 1, v0
	buffer_load_dwordx2 v[104:105], v1, s[24:27], 0 offen
	v_add_lshl_u32 v0, v0, s2, 1
	buffer_load_dwordx2 v[106:107], v0, s[24:27], 0 offen
	v_cmp_gt_i32_e32 vcc, s19, v108
	v_cmp_gt_i32_e64 s[0:1], s17, v109
	s_and_b64 s[2:3], s[0:1], vcc
	v_dot2c_f32_f16_e32 v21, v8, v7
	v_dot2c_f32_f16_e32 v25, v9, v7
	;; [unrolled: 1-line block ×8, first 2 shown]
	v_or_b32_e32 v110, 2, v109
	s_waitcnt vmcnt(15)
	v_cndmask_b32_e64 v7, 0, v14, s[2:3]
	v_add_u32_e32 v14, 64, v108
	v_cndmask_b32_e64 v5, 0, v15, s[2:3]
	v_cmp_gt_i32_e64 s[2:3], s19, v14
	s_and_b64 s[0:1], s[0:1], s[2:3]
	v_or_b32_e32 v111, 3, v109
	v_or_b32_e32 v0, 64, v109
	v_dot2c_f32_f16_e32 v17, v8, v3
	v_dot2c_f32_f16_e32 v29, v9, v3
	;; [unrolled: 1-line block ×4, first 2 shown]
	v_add_u32_e32 v3, 0x41, v109
	v_dot2c_f32_f16_e32 v16, v8, v2
	v_dot2c_f32_f16_e32 v28, v9, v2
	;; [unrolled: 1-line block ×12, first 2 shown]
	v_cvt_f32_f16_e32 v6, v7
	v_cvt_f32_f16_sdwa v7, v7 dst_sel:DWORD dst_unused:UNUSED_PAD src0_sel:WORD_1
	v_cvt_f32_f16_e32 v10, v5
	v_cvt_f32_f16_sdwa v11, v5 dst_sel:DWORD dst_unused:UNUSED_PAD src0_sel:WORD_1
	v_mul_lo_u32 v8, v109, s34
	v_pk_add_f32 v[6:7], v[78:79], v[6:7]
	s_lshl_b32 s18, s36, 1
	v_max_f32_e32 v5, 0, v7
	v_max_f32_e32 v6, 0, v6
	v_pk_add_f32 v[10:11], v[76:77], v[10:11]
	v_cvt_pk_f16_f32 v6, v6, v5
	v_max_f32_e32 v5, 0, v11
	s_waitcnt vmcnt(11)
	v_cndmask_b32_e64 v15, 0, v81, s[0:1]
	v_or_b32_e32 v81, 1, v109
	v_cndmask_b32_e64 v80, 0, v80, s[0:1]
	v_cmp_gt_i32_e64 s[0:1], s17, v81
	s_and_b64 s[4:5], s[0:1], vcc
	s_and_b64 s[0:1], s[0:1], s[2:3]
	v_cndmask_b32_e64 v83, 0, v83, s[0:1]
	v_cndmask_b32_e64 v82, 0, v82, s[0:1]
	v_cmp_gt_i32_e64 s[0:1], s17, v110
	v_max_f32_e32 v7, 0, v10
	v_cvt_f32_f16_e32 v10, v80
	v_cvt_f32_f16_sdwa v11, v80 dst_sel:DWORD dst_unused:UNUSED_PAD src0_sel:WORD_1
	v_bfrev_b32_e32 v76, 1
	v_cvt_pk_f16_f32 v7, v7, v5
	s_mov_b32 s19, s27
	s_waitcnt vmcnt(5)
	v_cndmask_b32_e64 v13, 0, v13, s[4:5]
	v_cndmask_b32_e64 v12, 0, v12, s[4:5]
	s_and_b64 s[4:5], s[0:1], vcc
	s_and_b64 s[0:1], s[0:1], s[2:3]
	v_cndmask_b32_e64 v87, 0, v87, s[0:1]
	v_cndmask_b32_e64 v86, 0, v86, s[0:1]
	v_cmp_gt_i32_e64 s[0:1], s17, v111
	s_waitcnt vmcnt(4)
	v_cndmask_b32_e64 v85, 0, v85, s[4:5]
	v_cndmask_b32_e64 v84, 0, v84, s[4:5]
	s_and_b64 s[4:5], s[0:1], vcc
	s_and_b64 s[0:1], s[0:1], s[2:3]
	v_cndmask_b32_e64 v93, 0, v93, s[0:1]
	v_cndmask_b32_e64 v92, 0, v92, s[0:1]
	v_cmp_gt_i32_e64 s[0:1], s17, v0
	v_cndmask_b32_e64 v91, 0, v91, s[4:5]
	v_cndmask_b32_e64 v90, 0, v90, s[4:5]
	s_and_b64 s[4:5], s[0:1], vcc
	s_and_b64 s[0:1], s[0:1], s[2:3]
	v_cndmask_b32_e64 v2, 0, v94, s[4:5]
	v_cndmask_b32_e64 v4, 0, v97, s[0:1]
	;; [unrolled: 1-line block ×3, first 2 shown]
	v_cmp_gt_i32_e64 s[0:1], s17, v3
	v_cndmask_b32_e64 v1, 0, v95, s[4:5]
	s_and_b64 s[4:5], s[0:1], vcc
	s_and_b64 s[0:1], s[0:1], s[2:3]
	v_add_u32_e32 v97, 0x42, v109
	s_waitcnt vmcnt(3)
	v_cndmask_b32_e64 v95, 0, v99, s[0:1]
	v_cndmask_b32_e64 v96, 0, v98, s[0:1]
	v_cmp_gt_i32_e64 s[0:1], s17, v97
	v_cndmask_b32_e64 v89, 0, v89, s[4:5]
	v_cndmask_b32_e64 v88, 0, v88, s[4:5]
	s_and_b64 s[4:5], s[0:1], vcc
	s_and_b64 s[0:1], s[0:1], s[2:3]
	v_cndmask_b32_e64 v98, 0, v101, s[4:5]
	s_waitcnt vmcnt(2)
	v_cndmask_b32_e64 v101, 0, v102, s[0:1]
	v_add_u32_e32 v102, 0x43, v109
	v_cndmask_b32_e64 v99, 0, v100, s[4:5]
	v_cndmask_b32_e64 v100, 0, v103, s[0:1]
	v_cmp_gt_i32_e64 s[0:1], s17, v102
	s_and_b64 vcc, s[0:1], vcc
	s_waitcnt vmcnt(1)
	v_cndmask_b32_e32 v103, 0, v105, vcc
	v_cndmask_b32_e32 v104, 0, v104, vcc
	s_and_b64 vcc, s[0:1], s[2:3]
	s_waitcnt vmcnt(0)
	v_cndmask_b32_e32 v105, 0, v107, vcc
	v_cndmask_b32_e32 v106, 0, v106, vcc
	v_mad_u64_u32 v[8:9], s[0:1], v108, s35, v[8:9]
	v_cmp_gt_i32_e32 vcc, s33, v108
	v_cmp_gt_i32_e64 s[2:3], s15, v109
	s_and_b64 s[0:1], s[2:3], vcc
	v_cndmask_b32_e64 v5, v76, 0, s[0:1]
	s_and_b32 s17, s44, 0xffff
	v_lshl_add_u32 v5, v8, 1, v5
	buffer_store_dwordx2 v[6:7], v5, s[16:19], 0 offen
	v_pk_add_f32 v[6:7], v[74:75], v[10:11]
	v_cvt_f32_f16_e32 v10, v15
	v_cvt_f32_f16_sdwa v11, v15 dst_sel:DWORD dst_unused:UNUSED_PAD src0_sel:WORD_1
	v_max_f32_e32 v7, 0, v7
	v_max_f32_e32 v6, 0, v6
	v_cvt_pk_f16_f32 v6, v6, v7
	v_pk_add_f32 v[10:11], v[72:73], v[10:11]
	v_cmp_gt_i32_e64 s[0:1], s33, v14
	v_max_f32_e32 v7, 0, v11
	v_max_f32_e32 v9, 0, v10
	v_cvt_f32_f16_e32 v10, v82
	v_cvt_f32_f16_sdwa v11, v82 dst_sel:DWORD dst_unused:UNUSED_PAD src0_sel:WORD_1
	s_lshl_b32 s4, s35, 6
	s_and_b64 s[2:3], s[2:3], s[0:1]
	v_add_u32_e32 v5, s4, v8
	v_cvt_pk_f16_f32 v7, v9, v7
	v_cndmask_b32_e64 v9, v76, 0, s[2:3]
	v_lshl_add_u32 v9, v5, 1, v9
	buffer_store_dwordx2 v[6:7], v9, s[16:19], 0 offen
	v_pk_add_f32 v[6:7], v[70:71], v[10:11]
	v_cvt_f32_f16_e32 v10, v83
	v_cvt_f32_f16_sdwa v11, v83 dst_sel:DWORD dst_unused:UNUSED_PAD src0_sel:WORD_1
	v_max_f32_e32 v7, 0, v7
	v_max_f32_e32 v6, 0, v6
	v_cmp_gt_i32_e64 s[2:3], s15, v81
	v_pk_add_f32 v[10:11], v[68:69], v[10:11]
	v_cvt_pk_f16_f32 v6, v6, v7
	v_max_f32_e32 v7, 0, v11
	v_max_f32_e32 v9, 0, v10
	s_and_b64 s[6:7], s[2:3], s[0:1]
	v_add_u32_e32 v5, s34, v5
	v_cvt_pk_f16_f32 v7, v9, v7
	v_cndmask_b32_e64 v9, v76, 0, s[6:7]
	v_cvt_f32_f16_e32 v10, v12
	v_cvt_f32_f16_sdwa v11, v12 dst_sel:DWORD dst_unused:UNUSED_PAD src0_sel:WORD_1
	v_lshl_add_u32 v9, v5, 1, v9
	buffer_store_dwordx2 v[6:7], v9, s[16:19], 0 offen
	v_add_u32_e32 v12, s34, v8
	v_cvt_f32_f16_e32 v8, v13
	v_cvt_f32_f16_sdwa v9, v13 dst_sel:DWORD dst_unused:UNUSED_PAD src0_sel:WORD_1
	v_pk_add_f32 v[6:7], v[66:67], v[10:11]
	s_and_b64 s[2:3], s[2:3], vcc
	v_max_f32_e32 v7, 0, v7
	v_max_f32_e32 v6, 0, v6
	v_pk_add_f32 v[8:9], v[64:65], v[8:9]
	v_cvt_pk_f16_f32 v6, v6, v7
	v_max_f32_e32 v7, 0, v9
	v_max_f32_e32 v8, 0, v8
	v_cvt_pk_f16_f32 v7, v8, v7
	v_cvt_f32_f16_e32 v8, v84
	v_cvt_f32_f16_sdwa v9, v84 dst_sel:DWORD dst_unused:UNUSED_PAD src0_sel:WORD_1
	v_cndmask_b32_e64 v10, v76, 0, s[2:3]
	v_lshl_add_u32 v10, v12, 1, v10
	buffer_store_dwordx2 v[6:7], v10, s[16:19], 0 offen
	v_pk_add_f32 v[6:7], v[62:63], v[8:9]
	v_cvt_f32_f16_e32 v8, v85
	v_cvt_f32_f16_sdwa v9, v85 dst_sel:DWORD dst_unused:UNUSED_PAD src0_sel:WORD_1
	v_max_f32_e32 v7, 0, v7
	v_max_f32_e32 v6, 0, v6
	v_cvt_pk_f16_f32 v6, v6, v7
	v_pk_add_f32 v[8:9], v[60:61], v[8:9]
	v_cmp_gt_i32_e64 s[2:3], s15, v110
	v_max_f32_e32 v7, 0, v9
	v_max_f32_e32 v8, 0, v8
	v_cvt_pk_f16_f32 v7, v8, v7
	v_cvt_f32_f16_e32 v8, v86
	v_cvt_f32_f16_sdwa v9, v86 dst_sel:DWORD dst_unused:UNUSED_PAD src0_sel:WORD_1
	s_and_b64 s[6:7], s[2:3], vcc
	v_add_u32_e32 v10, s34, v12
	v_cndmask_b32_e64 v11, v76, 0, s[6:7]
	v_lshl_add_u32 v10, v10, 1, v11
	buffer_store_dwordx2 v[6:7], v10, s[16:19], 0 offen
	v_pk_add_f32 v[6:7], v[58:59], v[8:9]
	v_cvt_f32_f16_e32 v8, v87
	v_cvt_f32_f16_sdwa v9, v87 dst_sel:DWORD dst_unused:UNUSED_PAD src0_sel:WORD_1
	v_max_f32_e32 v7, 0, v7
	v_max_f32_e32 v6, 0, v6
	v_cvt_pk_f16_f32 v6, v6, v7
	v_pk_add_f32 v[8:9], v[56:57], v[8:9]
	s_and_b64 s[2:3], s[2:3], s[0:1]
	v_max_f32_e32 v7, 0, v9
	v_max_f32_e32 v8, 0, v8
	v_cvt_pk_f16_f32 v7, v8, v7
	v_cvt_f32_f16_e32 v8, v92
	v_cvt_f32_f16_sdwa v9, v92 dst_sel:DWORD dst_unused:UNUSED_PAD src0_sel:WORD_1
	v_add_u32_e32 v5, s34, v5
	v_cndmask_b32_e64 v10, v76, 0, s[2:3]
	v_lshl_add_u32 v10, v5, 1, v10
	buffer_store_dwordx2 v[6:7], v10, s[16:19], 0 offen
	v_pk_add_f32 v[6:7], v[54:55], v[8:9]
	v_cvt_f32_f16_e32 v8, v93
	v_cvt_f32_f16_sdwa v9, v93 dst_sel:DWORD dst_unused:UNUSED_PAD src0_sel:WORD_1
	v_max_f32_e32 v7, 0, v7
	v_max_f32_e32 v6, 0, v6
	v_cvt_pk_f16_f32 v6, v6, v7
	v_pk_add_f32 v[8:9], v[52:53], v[8:9]
	v_cmp_gt_i32_e64 s[2:3], s15, v111
	v_max_f32_e32 v7, 0, v9
	v_max_f32_e32 v8, 0, v8
	v_cvt_pk_f16_f32 v7, v8, v7
	v_cvt_f32_f16_e32 v8, v90
	v_cvt_f32_f16_sdwa v9, v90 dst_sel:DWORD dst_unused:UNUSED_PAD src0_sel:WORD_1
	s_and_b64 s[6:7], s[2:3], s[0:1]
	v_add_u32_e32 v10, s34, v5
	v_cndmask_b32_e64 v11, v76, 0, s[6:7]
	v_lshl_add_u32 v11, v10, 1, v11
	buffer_store_dwordx2 v[6:7], v11, s[16:19], 0 offen
	v_pk_add_f32 v[6:7], v[50:51], v[8:9]
	v_cvt_f32_f16_e32 v8, v91
	v_cvt_f32_f16_sdwa v9, v91 dst_sel:DWORD dst_unused:UNUSED_PAD src0_sel:WORD_1
	v_max_f32_e32 v7, 0, v7
	v_max_f32_e32 v6, 0, v6
	v_cvt_pk_f16_f32 v6, v6, v7
	v_pk_add_f32 v[8:9], v[48:49], v[8:9]
	s_and_b64 s[2:3], s[2:3], vcc
	v_max_f32_e32 v7, 0, v9
	v_max_f32_e32 v8, 0, v8
	v_subrev_u32_e32 v11, s4, v10
	v_cvt_pk_f16_f32 v7, v8, v7
	v_cndmask_b32_e64 v8, v76, 0, s[2:3]
	v_lshl_add_u32 v12, v11, 1, v8
	v_cvt_f32_f16_e32 v8, v104
	v_cvt_f32_f16_sdwa v9, v104 dst_sel:DWORD dst_unused:UNUSED_PAD src0_sel:WORD_1
	buffer_store_dwordx2 v[6:7], v12, s[16:19], 0 offen
	v_cmp_gt_i32_e64 s[2:3], s15, v102
	s_lshl_b32 s5, s34, 6
	v_pk_add_f32 v[6:7], v[40:41], v[8:9]
	v_cvt_f32_f16_e32 v8, v103
	v_cvt_f32_f16_sdwa v9, v103 dst_sel:DWORD dst_unused:UNUSED_PAD src0_sel:WORD_1
	v_max_f32_e32 v7, 0, v7
	v_max_f32_e32 v6, 0, v6
	v_cvt_pk_f16_f32 v6, v6, v7
	v_pk_add_f32 v[8:9], v[46:47], v[8:9]
	s_and_b64 s[6:7], s[2:3], vcc
	v_max_f32_e32 v7, 0, v9
	v_max_f32_e32 v8, 0, v8
	v_cvt_pk_f16_f32 v7, v8, v7
	v_cvt_f32_f16_e32 v8, v106
	v_cvt_f32_f16_sdwa v9, v106 dst_sel:DWORD dst_unused:UNUSED_PAD src0_sel:WORD_1
	v_add_u32_e32 v11, s5, v11
	v_cndmask_b32_e64 v12, v76, 0, s[6:7]
	v_lshl_add_u32 v11, v11, 1, v12
	buffer_store_dwordx2 v[6:7], v11, s[16:19], 0 offen
	v_pk_add_f32 v[6:7], v[44:45], v[8:9]
	v_cvt_f32_f16_e32 v8, v105
	v_cvt_f32_f16_sdwa v9, v105 dst_sel:DWORD dst_unused:UNUSED_PAD src0_sel:WORD_1
	v_max_f32_e32 v7, 0, v7
	v_max_f32_e32 v6, 0, v6
	v_cvt_pk_f16_f32 v6, v6, v7
	v_pk_add_f32 v[8:9], v[42:43], v[8:9]
	s_and_b64 s[2:3], s[2:3], s[0:1]
	v_max_f32_e32 v7, 0, v9
	v_max_f32_e32 v8, 0, v8
	v_cvt_pk_f16_f32 v7, v8, v7
	v_cvt_f32_f16_e32 v8, v101
	v_cvt_f32_f16_sdwa v9, v101 dst_sel:DWORD dst_unused:UNUSED_PAD src0_sel:WORD_1
	v_add_u32_e32 v10, s5, v10
	v_cndmask_b32_e64 v11, v76, 0, s[2:3]
	v_lshl_add_u32 v10, v10, 1, v11
	buffer_store_dwordx2 v[6:7], v10, s[16:19], 0 offen
	v_pk_add_f32 v[6:7], v[38:39], v[8:9]
	v_cvt_f32_f16_e32 v8, v100
	v_cvt_f32_f16_sdwa v9, v100 dst_sel:DWORD dst_unused:UNUSED_PAD src0_sel:WORD_1
	v_max_f32_e32 v7, 0, v7
	v_max_f32_e32 v6, 0, v6
	v_cvt_pk_f16_f32 v6, v6, v7
	v_pk_add_f32 v[8:9], v[36:37], v[8:9]
	v_cmp_ge_i32_e64 s[2:3], s15, v102
	v_max_f32_e32 v7, 0, v9
	v_max_f32_e32 v8, 0, v8
	v_cvt_pk_f16_f32 v7, v8, v7
	v_cvt_f32_f16_e32 v8, v99
	v_cvt_f32_f16_sdwa v9, v99 dst_sel:DWORD dst_unused:UNUSED_PAD src0_sel:WORD_1
	s_and_b64 s[2:3], s[2:3], s[0:1]
	v_add_u32_e32 v5, s5, v5
	v_cndmask_b32_e64 v10, v76, 0, s[2:3]
	v_lshl_add_u32 v10, v5, 1, v10
	buffer_store_dwordx2 v[6:7], v10, s[16:19], 0 offen
	v_pk_add_f32 v[6:7], v[34:35], v[8:9]
	v_cvt_f32_f16_e32 v8, v98
	v_cvt_f32_f16_sdwa v9, v98 dst_sel:DWORD dst_unused:UNUSED_PAD src0_sel:WORD_1
	v_max_f32_e32 v7, 0, v7
	v_max_f32_e32 v6, 0, v6
	v_cvt_pk_f16_f32 v6, v6, v7
	v_pk_add_f32 v[8:9], v[32:33], v[8:9]
	v_cmp_gt_i32_e64 s[2:3], s15, v97
	v_max_f32_e32 v7, 0, v9
	v_max_f32_e32 v8, 0, v8
	v_cvt_pk_f16_f32 v7, v8, v7
	v_cvt_f32_f16_e32 v8, v88
	v_cvt_f32_f16_sdwa v9, v88 dst_sel:DWORD dst_unused:UNUSED_PAD src0_sel:WORD_1
	s_and_b64 s[2:3], s[2:3], vcc
	v_subrev_u32_e32 v5, s4, v5
	v_cndmask_b32_e64 v10, v76, 0, s[2:3]
	v_lshl_add_u32 v10, v5, 1, v10
	buffer_store_dwordx2 v[6:7], v10, s[16:19], 0 offen
	v_pk_add_f32 v[6:7], v[30:31], v[8:9]
	v_cvt_f32_f16_e32 v8, v89
	v_cvt_f32_f16_sdwa v9, v89 dst_sel:DWORD dst_unused:UNUSED_PAD src0_sel:WORD_1
	v_max_f32_e32 v7, 0, v7
	v_max_f32_e32 v6, 0, v6
	v_cvt_pk_f16_f32 v6, v6, v7
	v_pk_add_f32 v[8:9], v[28:29], v[8:9]
	v_cmp_ge_i32_e64 s[2:3], s15, v97
	v_max_f32_e32 v7, 0, v9
	v_max_f32_e32 v8, 0, v8
	v_cvt_pk_f16_f32 v7, v8, v7
	v_cvt_f32_f16_e32 v8, v96
	v_cvt_f32_f16_sdwa v9, v96 dst_sel:DWORD dst_unused:UNUSED_PAD src0_sel:WORD_1
	s_and_b64 s[2:3], s[2:3], vcc
	v_subrev_u32_e32 v5, s34, v5
	v_cndmask_b32_e64 v10, v76, 0, s[2:3]
	v_lshl_add_u32 v10, v5, 1, v10
	buffer_store_dwordx2 v[6:7], v10, s[16:19], 0 offen
	v_pk_add_f32 v[6:7], v[26:27], v[8:9]
	v_cvt_f32_f16_e32 v8, v95
	v_cvt_f32_f16_sdwa v9, v95 dst_sel:DWORD dst_unused:UNUSED_PAD src0_sel:WORD_1
	v_max_f32_e32 v7, 0, v7
	v_max_f32_e32 v6, 0, v6
	v_cvt_pk_f16_f32 v6, v6, v7
	v_pk_add_f32 v[8:9], v[24:25], v[8:9]
	v_cmp_gt_i32_e64 s[2:3], s15, v3
	v_max_f32_e32 v7, 0, v9
	v_max_f32_e32 v8, 0, v8
	v_cvt_pk_f16_f32 v7, v8, v7
	v_cvt_f32_f16_e32 v8, v94
	v_cvt_f32_f16_sdwa v9, v94 dst_sel:DWORD dst_unused:UNUSED_PAD src0_sel:WORD_1
	s_and_b64 s[2:3], s[2:3], s[0:1]
	v_add_u32_e32 v5, s4, v5
	v_cndmask_b32_e64 v10, v76, 0, s[2:3]
	v_lshl_add_u32 v10, v5, 1, v10
	buffer_store_dwordx2 v[6:7], v10, s[16:19], 0 offen
	v_pk_add_f32 v[6:7], v[22:23], v[8:9]
	v_cvt_f32_f16_e32 v8, v4
	v_cvt_f32_f16_sdwa v9, v4 dst_sel:DWORD dst_unused:UNUSED_PAD src0_sel:WORD_1
	v_cmp_ge_i32_e64 s[2:3], s15, v3
	v_subrev_u32_e32 v10, s34, v5
	v_max_f32_e32 v4, 0, v7
	v_max_f32_e32 v5, 0, v6
	v_pk_add_f32 v[6:7], v[20:21], v[8:9]
	s_and_b64 s[0:1], s[2:3], s[0:1]
	v_cvt_pk_f16_f32 v4, v5, v4
	v_max_f32_e32 v5, 0, v7
	v_max_f32_e32 v6, 0, v6
	v_cndmask_b32_e64 v3, v76, 0, s[0:1]
	v_cvt_pk_f16_f32 v5, v6, v5
	v_cvt_f32_f16_e32 v6, v2
	v_cvt_f32_f16_sdwa v7, v2 dst_sel:DWORD dst_unused:UNUSED_PAD src0_sel:WORD_1
	v_lshl_add_u32 v2, v10, 1, v3
	buffer_store_dwordx2 v[4:5], v2, s[16:19], 0 offen
	v_cvt_f32_f16_e32 v4, v1
	v_cvt_f32_f16_sdwa v5, v1 dst_sel:DWORD dst_unused:UNUSED_PAD src0_sel:WORD_1
	v_pk_add_f32 v[2:3], v[18:19], v[6:7]
	v_cmp_gt_i32_e64 s[0:1], s15, v0
	v_max_f32_e32 v1, 0, v3
	v_max_f32_e32 v2, 0, v2
	v_pk_add_f32 v[4:5], v[16:17], v[4:5]
	s_and_b64 s[0:1], s[0:1], vcc
	v_subrev_u32_e32 v8, s4, v10
	v_cvt_pk_f16_f32 v2, v2, v1
	v_max_f32_e32 v1, 0, v5
	v_max_f32_e32 v3, 0, v4
	v_cndmask_b32_e64 v0, v76, 0, s[0:1]
	v_cvt_pk_f16_f32 v3, v3, v1
	v_lshl_add_u32 v0, v8, 1, v0
	buffer_store_dwordx2 v[2:3], v0, s[16:19], 0 offen
	s_endpgm
	.section	.rodata,"a",@progbits
	.p2align	6, 0x0
	.amdhsa_kernel _ZN2ck16tensor_operation6device12_GLOBAL__N_137kernel_grouped_conv_fwd_dl_multiple_dINS_32GridwiseGemmDlMultipleD_km_kn_mnILi256EDF16_fNS_5TupleIJDF16_EEEDF16_NS0_12element_wise11PassThroughES8_NS7_7AddReluELNS_25InMemoryDataOperationEnumE0ENS_16TensorDescriptorINS5_IJNS_5EmbedINS5_IJiiiEEESD_Lb0EEENS_11PassThroughIiEENS_3PadIiiiLb0EEESG_SG_NSC_INS5_IJiiEEESJ_Lb0EEESG_NS_23Merge_v2_magic_divisionISJ_EESM_NS_8RightPadIiiLb0EEESO_NS_7UnMergeISJ_Lb0EEESG_EEENS5_IJNS_8SequenceIJLi0EEEENSS_IJLi1EEEENSS_IJLi2EEEENSS_IJLi3EEEENSS_IJLi4EEEENSS_IJLi5EEEENSS_IJLi6EEEENSS_IJLi7ELi9EEEENSS_IJLi8ELi10EEEENSS_IJLi11EEEENSS_IJLi12EEEENSS_IJLi14EEEENSS_IJLi13EEEEEEENS5_IJNSS_IJLi1ELi2ELi3EEEESX_SY_SZ_NSS_IJLi7EEEENSS_IJLi8ELi9EEEENSS_IJLi10EEEES12_S13_S15_S14_NSS_IJLi15ELi16EEEENSS_IJLi17EEEEEEENSS_IJLi15ELi17ELi16EEEElEENSB_INS5_IJSQ_SO_SO_SQ_SG_EEENS5_IJST_SU_SV_SX_SW_EEENS5_IJNSS_IJLi1ELi2EEEESW_SX_NSS_IJLi5ELi6EEEES18_EEENSS_IJLi5ELi7ELi6EEEElEENSB_INS5_IJSK_SO_SO_EEENS5_IJST_SU_SV_EEENS5_IJS1I_SW_SX_EEENSS_IJLi3ELi4EEEElEELi128ELi128ELi16ELi2ELi4ELi4ELi1ENSS_IJLi8ELi2EEEES1S_NSS_IJLi8ELi1ELi1ELi2EEEENSS_IJLi2ELi1ELi128ELi1EEEENSS_IJLi1ELi2ELi0ELi3EEEES1V_NSS_IJLi4ELi1ELi1ELi2EEEES1V_NSS_IJLi1ELi1ELi1ELi2EEEES1T_S1U_S1V_S1V_S1W_S1V_S1X_NSS_IJLi0ELi1ELi2ELi3ELi4ELi5EEEELi5ELi4EEEDF16_NS5_IJPKDF16_EEEDF16_S8_S8_S9_NSB_INS5_IJSE_SG_SI_SG_SG_SK_SG_SM_SM_SO_SO_SQ_SG_SG_NSP_INS5_IJiNS_17integral_constantIiLi128EEEEEELb0EEENSF_INS23_IiLi2EEEEEEEENS5_IJST_SU_SV_SW_SX_SY_SZ_S10_S11_S12_S13_S14_S15_NSS_IJLi15EEEES1C_NSS_IJLi16EEEEEEENS5_IJS17_SX_SY_SZ_S18_S19_S1A_S12_S13_S15_S14_S1B_S1C_NSS_IJLi18EEEENSS_IJLi19ELi20EEEENSS_IJLi21EEEEEEENSS_IJLi18ELi19ELi20ELi21EEEElEENSB_INS5_IJSQ_SO_SO_SQ_SG_SG_S26_S28_EEENS5_IJST_SU_SV_SX_SW_SY_S18_SZ_EEENS5_IJS1I_SW_SX_S1J_S18_NSS_IJLi8EEEENSS_IJLi9ELi10EEEES12_EEENSS_IJLi8ELi9ELi10ELi11EEEElEENS5_IJNSB_INS5_IJSK_SO_SO_NSP_INS5_IJiS27_NS23_IiLi64EEEEEELb0EEES2S_EEENS5_IJST_SU_SV_SW_SX_EEENS5_IJS1I_SW_SX_NSS_IJLi5ELi6ELi7EEEENSS_IJLi8ELi9ELi10EEEEEEENSS_IJLi5ELi6ELi7ELi8ELi9ELi10EEEElEEEEES2Z_NS_31BlockToCTileMap_M00_N00_M01_N01ILi128ELi128ES1R_Lb0EEENS1_30ComputePtrOffsetOfStridedBatchILi1ELi1ELi1EvEELb1ELb1EEEvPKT0_S37_T1_PT2_T3_T4_T5_iT6_T7_T8_T9_T10_T11_
		.amdhsa_group_segment_fixed_size 32768
		.amdhsa_private_segment_fixed_size 0
		.amdhsa_kernarg_size 904
		.amdhsa_user_sgpr_count 2
		.amdhsa_user_sgpr_dispatch_ptr 0
		.amdhsa_user_sgpr_queue_ptr 0
		.amdhsa_user_sgpr_kernarg_segment_ptr 1
		.amdhsa_user_sgpr_dispatch_id 0
		.amdhsa_user_sgpr_kernarg_preload_length 0
		.amdhsa_user_sgpr_kernarg_preload_offset 0
		.amdhsa_user_sgpr_private_segment_size 0
		.amdhsa_uses_dynamic_stack 0
		.amdhsa_enable_private_segment 0
		.amdhsa_system_sgpr_workgroup_id_x 1
		.amdhsa_system_sgpr_workgroup_id_y 0
		.amdhsa_system_sgpr_workgroup_id_z 0
		.amdhsa_system_sgpr_workgroup_info 0
		.amdhsa_system_vgpr_workitem_id 0
		.amdhsa_next_free_vgpr 126
		.amdhsa_next_free_sgpr 96
		.amdhsa_accum_offset 128
		.amdhsa_reserve_vcc 1
		.amdhsa_float_round_mode_32 0
		.amdhsa_float_round_mode_16_64 0
		.amdhsa_float_denorm_mode_32 3
		.amdhsa_float_denorm_mode_16_64 3
		.amdhsa_dx10_clamp 1
		.amdhsa_ieee_mode 1
		.amdhsa_fp16_overflow 0
		.amdhsa_tg_split 0
		.amdhsa_exception_fp_ieee_invalid_op 0
		.amdhsa_exception_fp_denorm_src 0
		.amdhsa_exception_fp_ieee_div_zero 0
		.amdhsa_exception_fp_ieee_overflow 0
		.amdhsa_exception_fp_ieee_underflow 0
		.amdhsa_exception_fp_ieee_inexact 0
		.amdhsa_exception_int_div_zero 0
	.end_amdhsa_kernel
	.section	.text._ZN2ck16tensor_operation6device12_GLOBAL__N_137kernel_grouped_conv_fwd_dl_multiple_dINS_32GridwiseGemmDlMultipleD_km_kn_mnILi256EDF16_fNS_5TupleIJDF16_EEEDF16_NS0_12element_wise11PassThroughES8_NS7_7AddReluELNS_25InMemoryDataOperationEnumE0ENS_16TensorDescriptorINS5_IJNS_5EmbedINS5_IJiiiEEESD_Lb0EEENS_11PassThroughIiEENS_3PadIiiiLb0EEESG_SG_NSC_INS5_IJiiEEESJ_Lb0EEESG_NS_23Merge_v2_magic_divisionISJ_EESM_NS_8RightPadIiiLb0EEESO_NS_7UnMergeISJ_Lb0EEESG_EEENS5_IJNS_8SequenceIJLi0EEEENSS_IJLi1EEEENSS_IJLi2EEEENSS_IJLi3EEEENSS_IJLi4EEEENSS_IJLi5EEEENSS_IJLi6EEEENSS_IJLi7ELi9EEEENSS_IJLi8ELi10EEEENSS_IJLi11EEEENSS_IJLi12EEEENSS_IJLi14EEEENSS_IJLi13EEEEEEENS5_IJNSS_IJLi1ELi2ELi3EEEESX_SY_SZ_NSS_IJLi7EEEENSS_IJLi8ELi9EEEENSS_IJLi10EEEES12_S13_S15_S14_NSS_IJLi15ELi16EEEENSS_IJLi17EEEEEEENSS_IJLi15ELi17ELi16EEEElEENSB_INS5_IJSQ_SO_SO_SQ_SG_EEENS5_IJST_SU_SV_SX_SW_EEENS5_IJNSS_IJLi1ELi2EEEESW_SX_NSS_IJLi5ELi6EEEES18_EEENSS_IJLi5ELi7ELi6EEEElEENSB_INS5_IJSK_SO_SO_EEENS5_IJST_SU_SV_EEENS5_IJS1I_SW_SX_EEENSS_IJLi3ELi4EEEElEELi128ELi128ELi16ELi2ELi4ELi4ELi1ENSS_IJLi8ELi2EEEES1S_NSS_IJLi8ELi1ELi1ELi2EEEENSS_IJLi2ELi1ELi128ELi1EEEENSS_IJLi1ELi2ELi0ELi3EEEES1V_NSS_IJLi4ELi1ELi1ELi2EEEES1V_NSS_IJLi1ELi1ELi1ELi2EEEES1T_S1U_S1V_S1V_S1W_S1V_S1X_NSS_IJLi0ELi1ELi2ELi3ELi4ELi5EEEELi5ELi4EEEDF16_NS5_IJPKDF16_EEEDF16_S8_S8_S9_NSB_INS5_IJSE_SG_SI_SG_SG_SK_SG_SM_SM_SO_SO_SQ_SG_SG_NSP_INS5_IJiNS_17integral_constantIiLi128EEEEEELb0EEENSF_INS23_IiLi2EEEEEEEENS5_IJST_SU_SV_SW_SX_SY_SZ_S10_S11_S12_S13_S14_S15_NSS_IJLi15EEEES1C_NSS_IJLi16EEEEEEENS5_IJS17_SX_SY_SZ_S18_S19_S1A_S12_S13_S15_S14_S1B_S1C_NSS_IJLi18EEEENSS_IJLi19ELi20EEEENSS_IJLi21EEEEEEENSS_IJLi18ELi19ELi20ELi21EEEElEENSB_INS5_IJSQ_SO_SO_SQ_SG_SG_S26_S28_EEENS5_IJST_SU_SV_SX_SW_SY_S18_SZ_EEENS5_IJS1I_SW_SX_S1J_S18_NSS_IJLi8EEEENSS_IJLi9ELi10EEEES12_EEENSS_IJLi8ELi9ELi10ELi11EEEElEENS5_IJNSB_INS5_IJSK_SO_SO_NSP_INS5_IJiS27_NS23_IiLi64EEEEEELb0EEES2S_EEENS5_IJST_SU_SV_SW_SX_EEENS5_IJS1I_SW_SX_NSS_IJLi5ELi6ELi7EEEENSS_IJLi8ELi9ELi10EEEEEEENSS_IJLi5ELi6ELi7ELi8ELi9ELi10EEEElEEEEES2Z_NS_31BlockToCTileMap_M00_N00_M01_N01ILi128ELi128ES1R_Lb0EEENS1_30ComputePtrOffsetOfStridedBatchILi1ELi1ELi1EvEELb1ELb1EEEvPKT0_S37_T1_PT2_T3_T4_T5_iT6_T7_T8_T9_T10_T11_,"axG",@progbits,_ZN2ck16tensor_operation6device12_GLOBAL__N_137kernel_grouped_conv_fwd_dl_multiple_dINS_32GridwiseGemmDlMultipleD_km_kn_mnILi256EDF16_fNS_5TupleIJDF16_EEEDF16_NS0_12element_wise11PassThroughES8_NS7_7AddReluELNS_25InMemoryDataOperationEnumE0ENS_16TensorDescriptorINS5_IJNS_5EmbedINS5_IJiiiEEESD_Lb0EEENS_11PassThroughIiEENS_3PadIiiiLb0EEESG_SG_NSC_INS5_IJiiEEESJ_Lb0EEESG_NS_23Merge_v2_magic_divisionISJ_EESM_NS_8RightPadIiiLb0EEESO_NS_7UnMergeISJ_Lb0EEESG_EEENS5_IJNS_8SequenceIJLi0EEEENSS_IJLi1EEEENSS_IJLi2EEEENSS_IJLi3EEEENSS_IJLi4EEEENSS_IJLi5EEEENSS_IJLi6EEEENSS_IJLi7ELi9EEEENSS_IJLi8ELi10EEEENSS_IJLi11EEEENSS_IJLi12EEEENSS_IJLi14EEEENSS_IJLi13EEEEEEENS5_IJNSS_IJLi1ELi2ELi3EEEESX_SY_SZ_NSS_IJLi7EEEENSS_IJLi8ELi9EEEENSS_IJLi10EEEES12_S13_S15_S14_NSS_IJLi15ELi16EEEENSS_IJLi17EEEEEEENSS_IJLi15ELi17ELi16EEEElEENSB_INS5_IJSQ_SO_SO_SQ_SG_EEENS5_IJST_SU_SV_SX_SW_EEENS5_IJNSS_IJLi1ELi2EEEESW_SX_NSS_IJLi5ELi6EEEES18_EEENSS_IJLi5ELi7ELi6EEEElEENSB_INS5_IJSK_SO_SO_EEENS5_IJST_SU_SV_EEENS5_IJS1I_SW_SX_EEENSS_IJLi3ELi4EEEElEELi128ELi128ELi16ELi2ELi4ELi4ELi1ENSS_IJLi8ELi2EEEES1S_NSS_IJLi8ELi1ELi1ELi2EEEENSS_IJLi2ELi1ELi128ELi1EEEENSS_IJLi1ELi2ELi0ELi3EEEES1V_NSS_IJLi4ELi1ELi1ELi2EEEES1V_NSS_IJLi1ELi1ELi1ELi2EEEES1T_S1U_S1V_S1V_S1W_S1V_S1X_NSS_IJLi0ELi1ELi2ELi3ELi4ELi5EEEELi5ELi4EEEDF16_NS5_IJPKDF16_EEEDF16_S8_S8_S9_NSB_INS5_IJSE_SG_SI_SG_SG_SK_SG_SM_SM_SO_SO_SQ_SG_SG_NSP_INS5_IJiNS_17integral_constantIiLi128EEEEEELb0EEENSF_INS23_IiLi2EEEEEEEENS5_IJST_SU_SV_SW_SX_SY_SZ_S10_S11_S12_S13_S14_S15_NSS_IJLi15EEEES1C_NSS_IJLi16EEEEEEENS5_IJS17_SX_SY_SZ_S18_S19_S1A_S12_S13_S15_S14_S1B_S1C_NSS_IJLi18EEEENSS_IJLi19ELi20EEEENSS_IJLi21EEEEEEENSS_IJLi18ELi19ELi20ELi21EEEElEENSB_INS5_IJSQ_SO_SO_SQ_SG_SG_S26_S28_EEENS5_IJST_SU_SV_SX_SW_SY_S18_SZ_EEENS5_IJS1I_SW_SX_S1J_S18_NSS_IJLi8EEEENSS_IJLi9ELi10EEEES12_EEENSS_IJLi8ELi9ELi10ELi11EEEElEENS5_IJNSB_INS5_IJSK_SO_SO_NSP_INS5_IJiS27_NS23_IiLi64EEEEEELb0EEES2S_EEENS5_IJST_SU_SV_SW_SX_EEENS5_IJS1I_SW_SX_NSS_IJLi5ELi6ELi7EEEENSS_IJLi8ELi9ELi10EEEEEEENSS_IJLi5ELi6ELi7ELi8ELi9ELi10EEEElEEEEES2Z_NS_31BlockToCTileMap_M00_N00_M01_N01ILi128ELi128ES1R_Lb0EEENS1_30ComputePtrOffsetOfStridedBatchILi1ELi1ELi1EvEELb1ELb1EEEvPKT0_S37_T1_PT2_T3_T4_T5_iT6_T7_T8_T9_T10_T11_,comdat
.Lfunc_end1:
	.size	_ZN2ck16tensor_operation6device12_GLOBAL__N_137kernel_grouped_conv_fwd_dl_multiple_dINS_32GridwiseGemmDlMultipleD_km_kn_mnILi256EDF16_fNS_5TupleIJDF16_EEEDF16_NS0_12element_wise11PassThroughES8_NS7_7AddReluELNS_25InMemoryDataOperationEnumE0ENS_16TensorDescriptorINS5_IJNS_5EmbedINS5_IJiiiEEESD_Lb0EEENS_11PassThroughIiEENS_3PadIiiiLb0EEESG_SG_NSC_INS5_IJiiEEESJ_Lb0EEESG_NS_23Merge_v2_magic_divisionISJ_EESM_NS_8RightPadIiiLb0EEESO_NS_7UnMergeISJ_Lb0EEESG_EEENS5_IJNS_8SequenceIJLi0EEEENSS_IJLi1EEEENSS_IJLi2EEEENSS_IJLi3EEEENSS_IJLi4EEEENSS_IJLi5EEEENSS_IJLi6EEEENSS_IJLi7ELi9EEEENSS_IJLi8ELi10EEEENSS_IJLi11EEEENSS_IJLi12EEEENSS_IJLi14EEEENSS_IJLi13EEEEEEENS5_IJNSS_IJLi1ELi2ELi3EEEESX_SY_SZ_NSS_IJLi7EEEENSS_IJLi8ELi9EEEENSS_IJLi10EEEES12_S13_S15_S14_NSS_IJLi15ELi16EEEENSS_IJLi17EEEEEEENSS_IJLi15ELi17ELi16EEEElEENSB_INS5_IJSQ_SO_SO_SQ_SG_EEENS5_IJST_SU_SV_SX_SW_EEENS5_IJNSS_IJLi1ELi2EEEESW_SX_NSS_IJLi5ELi6EEEES18_EEENSS_IJLi5ELi7ELi6EEEElEENSB_INS5_IJSK_SO_SO_EEENS5_IJST_SU_SV_EEENS5_IJS1I_SW_SX_EEENSS_IJLi3ELi4EEEElEELi128ELi128ELi16ELi2ELi4ELi4ELi1ENSS_IJLi8ELi2EEEES1S_NSS_IJLi8ELi1ELi1ELi2EEEENSS_IJLi2ELi1ELi128ELi1EEEENSS_IJLi1ELi2ELi0ELi3EEEES1V_NSS_IJLi4ELi1ELi1ELi2EEEES1V_NSS_IJLi1ELi1ELi1ELi2EEEES1T_S1U_S1V_S1V_S1W_S1V_S1X_NSS_IJLi0ELi1ELi2ELi3ELi4ELi5EEEELi5ELi4EEEDF16_NS5_IJPKDF16_EEEDF16_S8_S8_S9_NSB_INS5_IJSE_SG_SI_SG_SG_SK_SG_SM_SM_SO_SO_SQ_SG_SG_NSP_INS5_IJiNS_17integral_constantIiLi128EEEEEELb0EEENSF_INS23_IiLi2EEEEEEEENS5_IJST_SU_SV_SW_SX_SY_SZ_S10_S11_S12_S13_S14_S15_NSS_IJLi15EEEES1C_NSS_IJLi16EEEEEEENS5_IJS17_SX_SY_SZ_S18_S19_S1A_S12_S13_S15_S14_S1B_S1C_NSS_IJLi18EEEENSS_IJLi19ELi20EEEENSS_IJLi21EEEEEEENSS_IJLi18ELi19ELi20ELi21EEEElEENSB_INS5_IJSQ_SO_SO_SQ_SG_SG_S26_S28_EEENS5_IJST_SU_SV_SX_SW_SY_S18_SZ_EEENS5_IJS1I_SW_SX_S1J_S18_NSS_IJLi8EEEENSS_IJLi9ELi10EEEES12_EEENSS_IJLi8ELi9ELi10ELi11EEEElEENS5_IJNSB_INS5_IJSK_SO_SO_NSP_INS5_IJiS27_NS23_IiLi64EEEEEELb0EEES2S_EEENS5_IJST_SU_SV_SW_SX_EEENS5_IJS1I_SW_SX_NSS_IJLi5ELi6ELi7EEEENSS_IJLi8ELi9ELi10EEEEEEENSS_IJLi5ELi6ELi7ELi8ELi9ELi10EEEElEEEEES2Z_NS_31BlockToCTileMap_M00_N00_M01_N01ILi128ELi128ES1R_Lb0EEENS1_30ComputePtrOffsetOfStridedBatchILi1ELi1ELi1EvEELb1ELb1EEEvPKT0_S37_T1_PT2_T3_T4_T5_iT6_T7_T8_T9_T10_T11_, .Lfunc_end1-_ZN2ck16tensor_operation6device12_GLOBAL__N_137kernel_grouped_conv_fwd_dl_multiple_dINS_32GridwiseGemmDlMultipleD_km_kn_mnILi256EDF16_fNS_5TupleIJDF16_EEEDF16_NS0_12element_wise11PassThroughES8_NS7_7AddReluELNS_25InMemoryDataOperationEnumE0ENS_16TensorDescriptorINS5_IJNS_5EmbedINS5_IJiiiEEESD_Lb0EEENS_11PassThroughIiEENS_3PadIiiiLb0EEESG_SG_NSC_INS5_IJiiEEESJ_Lb0EEESG_NS_23Merge_v2_magic_divisionISJ_EESM_NS_8RightPadIiiLb0EEESO_NS_7UnMergeISJ_Lb0EEESG_EEENS5_IJNS_8SequenceIJLi0EEEENSS_IJLi1EEEENSS_IJLi2EEEENSS_IJLi3EEEENSS_IJLi4EEEENSS_IJLi5EEEENSS_IJLi6EEEENSS_IJLi7ELi9EEEENSS_IJLi8ELi10EEEENSS_IJLi11EEEENSS_IJLi12EEEENSS_IJLi14EEEENSS_IJLi13EEEEEEENS5_IJNSS_IJLi1ELi2ELi3EEEESX_SY_SZ_NSS_IJLi7EEEENSS_IJLi8ELi9EEEENSS_IJLi10EEEES12_S13_S15_S14_NSS_IJLi15ELi16EEEENSS_IJLi17EEEEEEENSS_IJLi15ELi17ELi16EEEElEENSB_INS5_IJSQ_SO_SO_SQ_SG_EEENS5_IJST_SU_SV_SX_SW_EEENS5_IJNSS_IJLi1ELi2EEEESW_SX_NSS_IJLi5ELi6EEEES18_EEENSS_IJLi5ELi7ELi6EEEElEENSB_INS5_IJSK_SO_SO_EEENS5_IJST_SU_SV_EEENS5_IJS1I_SW_SX_EEENSS_IJLi3ELi4EEEElEELi128ELi128ELi16ELi2ELi4ELi4ELi1ENSS_IJLi8ELi2EEEES1S_NSS_IJLi8ELi1ELi1ELi2EEEENSS_IJLi2ELi1ELi128ELi1EEEENSS_IJLi1ELi2ELi0ELi3EEEES1V_NSS_IJLi4ELi1ELi1ELi2EEEES1V_NSS_IJLi1ELi1ELi1ELi2EEEES1T_S1U_S1V_S1V_S1W_S1V_S1X_NSS_IJLi0ELi1ELi2ELi3ELi4ELi5EEEELi5ELi4EEEDF16_NS5_IJPKDF16_EEEDF16_S8_S8_S9_NSB_INS5_IJSE_SG_SI_SG_SG_SK_SG_SM_SM_SO_SO_SQ_SG_SG_NSP_INS5_IJiNS_17integral_constantIiLi128EEEEEELb0EEENSF_INS23_IiLi2EEEEEEEENS5_IJST_SU_SV_SW_SX_SY_SZ_S10_S11_S12_S13_S14_S15_NSS_IJLi15EEEES1C_NSS_IJLi16EEEEEEENS5_IJS17_SX_SY_SZ_S18_S19_S1A_S12_S13_S15_S14_S1B_S1C_NSS_IJLi18EEEENSS_IJLi19ELi20EEEENSS_IJLi21EEEEEEENSS_IJLi18ELi19ELi20ELi21EEEElEENSB_INS5_IJSQ_SO_SO_SQ_SG_SG_S26_S28_EEENS5_IJST_SU_SV_SX_SW_SY_S18_SZ_EEENS5_IJS1I_SW_SX_S1J_S18_NSS_IJLi8EEEENSS_IJLi9ELi10EEEES12_EEENSS_IJLi8ELi9ELi10ELi11EEEElEENS5_IJNSB_INS5_IJSK_SO_SO_NSP_INS5_IJiS27_NS23_IiLi64EEEEEELb0EEES2S_EEENS5_IJST_SU_SV_SW_SX_EEENS5_IJS1I_SW_SX_NSS_IJLi5ELi6ELi7EEEENSS_IJLi8ELi9ELi10EEEEEEENSS_IJLi5ELi6ELi7ELi8ELi9ELi10EEEElEEEEES2Z_NS_31BlockToCTileMap_M00_N00_M01_N01ILi128ELi128ES1R_Lb0EEENS1_30ComputePtrOffsetOfStridedBatchILi1ELi1ELi1EvEELb1ELb1EEEvPKT0_S37_T1_PT2_T3_T4_T5_iT6_T7_T8_T9_T10_T11_
                                        ; -- End function
	.set _ZN2ck16tensor_operation6device12_GLOBAL__N_137kernel_grouped_conv_fwd_dl_multiple_dINS_32GridwiseGemmDlMultipleD_km_kn_mnILi256EDF16_fNS_5TupleIJDF16_EEEDF16_NS0_12element_wise11PassThroughES8_NS7_7AddReluELNS_25InMemoryDataOperationEnumE0ENS_16TensorDescriptorINS5_IJNS_5EmbedINS5_IJiiiEEESD_Lb0EEENS_11PassThroughIiEENS_3PadIiiiLb0EEESG_SG_NSC_INS5_IJiiEEESJ_Lb0EEESG_NS_23Merge_v2_magic_divisionISJ_EESM_NS_8RightPadIiiLb0EEESO_NS_7UnMergeISJ_Lb0EEESG_EEENS5_IJNS_8SequenceIJLi0EEEENSS_IJLi1EEEENSS_IJLi2EEEENSS_IJLi3EEEENSS_IJLi4EEEENSS_IJLi5EEEENSS_IJLi6EEEENSS_IJLi7ELi9EEEENSS_IJLi8ELi10EEEENSS_IJLi11EEEENSS_IJLi12EEEENSS_IJLi14EEEENSS_IJLi13EEEEEEENS5_IJNSS_IJLi1ELi2ELi3EEEESX_SY_SZ_NSS_IJLi7EEEENSS_IJLi8ELi9EEEENSS_IJLi10EEEES12_S13_S15_S14_NSS_IJLi15ELi16EEEENSS_IJLi17EEEEEEENSS_IJLi15ELi17ELi16EEEElEENSB_INS5_IJSQ_SO_SO_SQ_SG_EEENS5_IJST_SU_SV_SX_SW_EEENS5_IJNSS_IJLi1ELi2EEEESW_SX_NSS_IJLi5ELi6EEEES18_EEENSS_IJLi5ELi7ELi6EEEElEENSB_INS5_IJSK_SO_SO_EEENS5_IJST_SU_SV_EEENS5_IJS1I_SW_SX_EEENSS_IJLi3ELi4EEEElEELi128ELi128ELi16ELi2ELi4ELi4ELi1ENSS_IJLi8ELi2EEEES1S_NSS_IJLi8ELi1ELi1ELi2EEEENSS_IJLi2ELi1ELi128ELi1EEEENSS_IJLi1ELi2ELi0ELi3EEEES1V_NSS_IJLi4ELi1ELi1ELi2EEEES1V_NSS_IJLi1ELi1ELi1ELi2EEEES1T_S1U_S1V_S1V_S1W_S1V_S1X_NSS_IJLi0ELi1ELi2ELi3ELi4ELi5EEEELi5ELi4EEEDF16_NS5_IJPKDF16_EEEDF16_S8_S8_S9_NSB_INS5_IJSE_SG_SI_SG_SG_SK_SG_SM_SM_SO_SO_SQ_SG_SG_NSP_INS5_IJiNS_17integral_constantIiLi128EEEEEELb0EEENSF_INS23_IiLi2EEEEEEEENS5_IJST_SU_SV_SW_SX_SY_SZ_S10_S11_S12_S13_S14_S15_NSS_IJLi15EEEES1C_NSS_IJLi16EEEEEEENS5_IJS17_SX_SY_SZ_S18_S19_S1A_S12_S13_S15_S14_S1B_S1C_NSS_IJLi18EEEENSS_IJLi19ELi20EEEENSS_IJLi21EEEEEEENSS_IJLi18ELi19ELi20ELi21EEEElEENSB_INS5_IJSQ_SO_SO_SQ_SG_SG_S26_S28_EEENS5_IJST_SU_SV_SX_SW_SY_S18_SZ_EEENS5_IJS1I_SW_SX_S1J_S18_NSS_IJLi8EEEENSS_IJLi9ELi10EEEES12_EEENSS_IJLi8ELi9ELi10ELi11EEEElEENS5_IJNSB_INS5_IJSK_SO_SO_NSP_INS5_IJiS27_NS23_IiLi64EEEEEELb0EEES2S_EEENS5_IJST_SU_SV_SW_SX_EEENS5_IJS1I_SW_SX_NSS_IJLi5ELi6ELi7EEEENSS_IJLi8ELi9ELi10EEEEEEENSS_IJLi5ELi6ELi7ELi8ELi9ELi10EEEElEEEEES2Z_NS_31BlockToCTileMap_M00_N00_M01_N01ILi128ELi128ES1R_Lb0EEENS1_30ComputePtrOffsetOfStridedBatchILi1ELi1ELi1EvEELb1ELb1EEEvPKT0_S37_T1_PT2_T3_T4_T5_iT6_T7_T8_T9_T10_T11_.num_vgpr, 126
	.set _ZN2ck16tensor_operation6device12_GLOBAL__N_137kernel_grouped_conv_fwd_dl_multiple_dINS_32GridwiseGemmDlMultipleD_km_kn_mnILi256EDF16_fNS_5TupleIJDF16_EEEDF16_NS0_12element_wise11PassThroughES8_NS7_7AddReluELNS_25InMemoryDataOperationEnumE0ENS_16TensorDescriptorINS5_IJNS_5EmbedINS5_IJiiiEEESD_Lb0EEENS_11PassThroughIiEENS_3PadIiiiLb0EEESG_SG_NSC_INS5_IJiiEEESJ_Lb0EEESG_NS_23Merge_v2_magic_divisionISJ_EESM_NS_8RightPadIiiLb0EEESO_NS_7UnMergeISJ_Lb0EEESG_EEENS5_IJNS_8SequenceIJLi0EEEENSS_IJLi1EEEENSS_IJLi2EEEENSS_IJLi3EEEENSS_IJLi4EEEENSS_IJLi5EEEENSS_IJLi6EEEENSS_IJLi7ELi9EEEENSS_IJLi8ELi10EEEENSS_IJLi11EEEENSS_IJLi12EEEENSS_IJLi14EEEENSS_IJLi13EEEEEEENS5_IJNSS_IJLi1ELi2ELi3EEEESX_SY_SZ_NSS_IJLi7EEEENSS_IJLi8ELi9EEEENSS_IJLi10EEEES12_S13_S15_S14_NSS_IJLi15ELi16EEEENSS_IJLi17EEEEEEENSS_IJLi15ELi17ELi16EEEElEENSB_INS5_IJSQ_SO_SO_SQ_SG_EEENS5_IJST_SU_SV_SX_SW_EEENS5_IJNSS_IJLi1ELi2EEEESW_SX_NSS_IJLi5ELi6EEEES18_EEENSS_IJLi5ELi7ELi6EEEElEENSB_INS5_IJSK_SO_SO_EEENS5_IJST_SU_SV_EEENS5_IJS1I_SW_SX_EEENSS_IJLi3ELi4EEEElEELi128ELi128ELi16ELi2ELi4ELi4ELi1ENSS_IJLi8ELi2EEEES1S_NSS_IJLi8ELi1ELi1ELi2EEEENSS_IJLi2ELi1ELi128ELi1EEEENSS_IJLi1ELi2ELi0ELi3EEEES1V_NSS_IJLi4ELi1ELi1ELi2EEEES1V_NSS_IJLi1ELi1ELi1ELi2EEEES1T_S1U_S1V_S1V_S1W_S1V_S1X_NSS_IJLi0ELi1ELi2ELi3ELi4ELi5EEEELi5ELi4EEEDF16_NS5_IJPKDF16_EEEDF16_S8_S8_S9_NSB_INS5_IJSE_SG_SI_SG_SG_SK_SG_SM_SM_SO_SO_SQ_SG_SG_NSP_INS5_IJiNS_17integral_constantIiLi128EEEEEELb0EEENSF_INS23_IiLi2EEEEEEEENS5_IJST_SU_SV_SW_SX_SY_SZ_S10_S11_S12_S13_S14_S15_NSS_IJLi15EEEES1C_NSS_IJLi16EEEEEEENS5_IJS17_SX_SY_SZ_S18_S19_S1A_S12_S13_S15_S14_S1B_S1C_NSS_IJLi18EEEENSS_IJLi19ELi20EEEENSS_IJLi21EEEEEEENSS_IJLi18ELi19ELi20ELi21EEEElEENSB_INS5_IJSQ_SO_SO_SQ_SG_SG_S26_S28_EEENS5_IJST_SU_SV_SX_SW_SY_S18_SZ_EEENS5_IJS1I_SW_SX_S1J_S18_NSS_IJLi8EEEENSS_IJLi9ELi10EEEES12_EEENSS_IJLi8ELi9ELi10ELi11EEEElEENS5_IJNSB_INS5_IJSK_SO_SO_NSP_INS5_IJiS27_NS23_IiLi64EEEEEELb0EEES2S_EEENS5_IJST_SU_SV_SW_SX_EEENS5_IJS1I_SW_SX_NSS_IJLi5ELi6ELi7EEEENSS_IJLi8ELi9ELi10EEEEEEENSS_IJLi5ELi6ELi7ELi8ELi9ELi10EEEElEEEEES2Z_NS_31BlockToCTileMap_M00_N00_M01_N01ILi128ELi128ES1R_Lb0EEENS1_30ComputePtrOffsetOfStridedBatchILi1ELi1ELi1EvEELb1ELb1EEEvPKT0_S37_T1_PT2_T3_T4_T5_iT6_T7_T8_T9_T10_T11_.num_agpr, 0
	.set _ZN2ck16tensor_operation6device12_GLOBAL__N_137kernel_grouped_conv_fwd_dl_multiple_dINS_32GridwiseGemmDlMultipleD_km_kn_mnILi256EDF16_fNS_5TupleIJDF16_EEEDF16_NS0_12element_wise11PassThroughES8_NS7_7AddReluELNS_25InMemoryDataOperationEnumE0ENS_16TensorDescriptorINS5_IJNS_5EmbedINS5_IJiiiEEESD_Lb0EEENS_11PassThroughIiEENS_3PadIiiiLb0EEESG_SG_NSC_INS5_IJiiEEESJ_Lb0EEESG_NS_23Merge_v2_magic_divisionISJ_EESM_NS_8RightPadIiiLb0EEESO_NS_7UnMergeISJ_Lb0EEESG_EEENS5_IJNS_8SequenceIJLi0EEEENSS_IJLi1EEEENSS_IJLi2EEEENSS_IJLi3EEEENSS_IJLi4EEEENSS_IJLi5EEEENSS_IJLi6EEEENSS_IJLi7ELi9EEEENSS_IJLi8ELi10EEEENSS_IJLi11EEEENSS_IJLi12EEEENSS_IJLi14EEEENSS_IJLi13EEEEEEENS5_IJNSS_IJLi1ELi2ELi3EEEESX_SY_SZ_NSS_IJLi7EEEENSS_IJLi8ELi9EEEENSS_IJLi10EEEES12_S13_S15_S14_NSS_IJLi15ELi16EEEENSS_IJLi17EEEEEEENSS_IJLi15ELi17ELi16EEEElEENSB_INS5_IJSQ_SO_SO_SQ_SG_EEENS5_IJST_SU_SV_SX_SW_EEENS5_IJNSS_IJLi1ELi2EEEESW_SX_NSS_IJLi5ELi6EEEES18_EEENSS_IJLi5ELi7ELi6EEEElEENSB_INS5_IJSK_SO_SO_EEENS5_IJST_SU_SV_EEENS5_IJS1I_SW_SX_EEENSS_IJLi3ELi4EEEElEELi128ELi128ELi16ELi2ELi4ELi4ELi1ENSS_IJLi8ELi2EEEES1S_NSS_IJLi8ELi1ELi1ELi2EEEENSS_IJLi2ELi1ELi128ELi1EEEENSS_IJLi1ELi2ELi0ELi3EEEES1V_NSS_IJLi4ELi1ELi1ELi2EEEES1V_NSS_IJLi1ELi1ELi1ELi2EEEES1T_S1U_S1V_S1V_S1W_S1V_S1X_NSS_IJLi0ELi1ELi2ELi3ELi4ELi5EEEELi5ELi4EEEDF16_NS5_IJPKDF16_EEEDF16_S8_S8_S9_NSB_INS5_IJSE_SG_SI_SG_SG_SK_SG_SM_SM_SO_SO_SQ_SG_SG_NSP_INS5_IJiNS_17integral_constantIiLi128EEEEEELb0EEENSF_INS23_IiLi2EEEEEEEENS5_IJST_SU_SV_SW_SX_SY_SZ_S10_S11_S12_S13_S14_S15_NSS_IJLi15EEEES1C_NSS_IJLi16EEEEEEENS5_IJS17_SX_SY_SZ_S18_S19_S1A_S12_S13_S15_S14_S1B_S1C_NSS_IJLi18EEEENSS_IJLi19ELi20EEEENSS_IJLi21EEEEEEENSS_IJLi18ELi19ELi20ELi21EEEElEENSB_INS5_IJSQ_SO_SO_SQ_SG_SG_S26_S28_EEENS5_IJST_SU_SV_SX_SW_SY_S18_SZ_EEENS5_IJS1I_SW_SX_S1J_S18_NSS_IJLi8EEEENSS_IJLi9ELi10EEEES12_EEENSS_IJLi8ELi9ELi10ELi11EEEElEENS5_IJNSB_INS5_IJSK_SO_SO_NSP_INS5_IJiS27_NS23_IiLi64EEEEEELb0EEES2S_EEENS5_IJST_SU_SV_SW_SX_EEENS5_IJS1I_SW_SX_NSS_IJLi5ELi6ELi7EEEENSS_IJLi8ELi9ELi10EEEEEEENSS_IJLi5ELi6ELi7ELi8ELi9ELi10EEEElEEEEES2Z_NS_31BlockToCTileMap_M00_N00_M01_N01ILi128ELi128ES1R_Lb0EEENS1_30ComputePtrOffsetOfStridedBatchILi1ELi1ELi1EvEELb1ELb1EEEvPKT0_S37_T1_PT2_T3_T4_T5_iT6_T7_T8_T9_T10_T11_.numbered_sgpr, 64
	.set _ZN2ck16tensor_operation6device12_GLOBAL__N_137kernel_grouped_conv_fwd_dl_multiple_dINS_32GridwiseGemmDlMultipleD_km_kn_mnILi256EDF16_fNS_5TupleIJDF16_EEEDF16_NS0_12element_wise11PassThroughES8_NS7_7AddReluELNS_25InMemoryDataOperationEnumE0ENS_16TensorDescriptorINS5_IJNS_5EmbedINS5_IJiiiEEESD_Lb0EEENS_11PassThroughIiEENS_3PadIiiiLb0EEESG_SG_NSC_INS5_IJiiEEESJ_Lb0EEESG_NS_23Merge_v2_magic_divisionISJ_EESM_NS_8RightPadIiiLb0EEESO_NS_7UnMergeISJ_Lb0EEESG_EEENS5_IJNS_8SequenceIJLi0EEEENSS_IJLi1EEEENSS_IJLi2EEEENSS_IJLi3EEEENSS_IJLi4EEEENSS_IJLi5EEEENSS_IJLi6EEEENSS_IJLi7ELi9EEEENSS_IJLi8ELi10EEEENSS_IJLi11EEEENSS_IJLi12EEEENSS_IJLi14EEEENSS_IJLi13EEEEEEENS5_IJNSS_IJLi1ELi2ELi3EEEESX_SY_SZ_NSS_IJLi7EEEENSS_IJLi8ELi9EEEENSS_IJLi10EEEES12_S13_S15_S14_NSS_IJLi15ELi16EEEENSS_IJLi17EEEEEEENSS_IJLi15ELi17ELi16EEEElEENSB_INS5_IJSQ_SO_SO_SQ_SG_EEENS5_IJST_SU_SV_SX_SW_EEENS5_IJNSS_IJLi1ELi2EEEESW_SX_NSS_IJLi5ELi6EEEES18_EEENSS_IJLi5ELi7ELi6EEEElEENSB_INS5_IJSK_SO_SO_EEENS5_IJST_SU_SV_EEENS5_IJS1I_SW_SX_EEENSS_IJLi3ELi4EEEElEELi128ELi128ELi16ELi2ELi4ELi4ELi1ENSS_IJLi8ELi2EEEES1S_NSS_IJLi8ELi1ELi1ELi2EEEENSS_IJLi2ELi1ELi128ELi1EEEENSS_IJLi1ELi2ELi0ELi3EEEES1V_NSS_IJLi4ELi1ELi1ELi2EEEES1V_NSS_IJLi1ELi1ELi1ELi2EEEES1T_S1U_S1V_S1V_S1W_S1V_S1X_NSS_IJLi0ELi1ELi2ELi3ELi4ELi5EEEELi5ELi4EEEDF16_NS5_IJPKDF16_EEEDF16_S8_S8_S9_NSB_INS5_IJSE_SG_SI_SG_SG_SK_SG_SM_SM_SO_SO_SQ_SG_SG_NSP_INS5_IJiNS_17integral_constantIiLi128EEEEEELb0EEENSF_INS23_IiLi2EEEEEEEENS5_IJST_SU_SV_SW_SX_SY_SZ_S10_S11_S12_S13_S14_S15_NSS_IJLi15EEEES1C_NSS_IJLi16EEEEEEENS5_IJS17_SX_SY_SZ_S18_S19_S1A_S12_S13_S15_S14_S1B_S1C_NSS_IJLi18EEEENSS_IJLi19ELi20EEEENSS_IJLi21EEEEEEENSS_IJLi18ELi19ELi20ELi21EEEElEENSB_INS5_IJSQ_SO_SO_SQ_SG_SG_S26_S28_EEENS5_IJST_SU_SV_SX_SW_SY_S18_SZ_EEENS5_IJS1I_SW_SX_S1J_S18_NSS_IJLi8EEEENSS_IJLi9ELi10EEEES12_EEENSS_IJLi8ELi9ELi10ELi11EEEElEENS5_IJNSB_INS5_IJSK_SO_SO_NSP_INS5_IJiS27_NS23_IiLi64EEEEEELb0EEES2S_EEENS5_IJST_SU_SV_SW_SX_EEENS5_IJS1I_SW_SX_NSS_IJLi5ELi6ELi7EEEENSS_IJLi8ELi9ELi10EEEEEEENSS_IJLi5ELi6ELi7ELi8ELi9ELi10EEEElEEEEES2Z_NS_31BlockToCTileMap_M00_N00_M01_N01ILi128ELi128ES1R_Lb0EEENS1_30ComputePtrOffsetOfStridedBatchILi1ELi1ELi1EvEELb1ELb1EEEvPKT0_S37_T1_PT2_T3_T4_T5_iT6_T7_T8_T9_T10_T11_.num_named_barrier, 0
	.set _ZN2ck16tensor_operation6device12_GLOBAL__N_137kernel_grouped_conv_fwd_dl_multiple_dINS_32GridwiseGemmDlMultipleD_km_kn_mnILi256EDF16_fNS_5TupleIJDF16_EEEDF16_NS0_12element_wise11PassThroughES8_NS7_7AddReluELNS_25InMemoryDataOperationEnumE0ENS_16TensorDescriptorINS5_IJNS_5EmbedINS5_IJiiiEEESD_Lb0EEENS_11PassThroughIiEENS_3PadIiiiLb0EEESG_SG_NSC_INS5_IJiiEEESJ_Lb0EEESG_NS_23Merge_v2_magic_divisionISJ_EESM_NS_8RightPadIiiLb0EEESO_NS_7UnMergeISJ_Lb0EEESG_EEENS5_IJNS_8SequenceIJLi0EEEENSS_IJLi1EEEENSS_IJLi2EEEENSS_IJLi3EEEENSS_IJLi4EEEENSS_IJLi5EEEENSS_IJLi6EEEENSS_IJLi7ELi9EEEENSS_IJLi8ELi10EEEENSS_IJLi11EEEENSS_IJLi12EEEENSS_IJLi14EEEENSS_IJLi13EEEEEEENS5_IJNSS_IJLi1ELi2ELi3EEEESX_SY_SZ_NSS_IJLi7EEEENSS_IJLi8ELi9EEEENSS_IJLi10EEEES12_S13_S15_S14_NSS_IJLi15ELi16EEEENSS_IJLi17EEEEEEENSS_IJLi15ELi17ELi16EEEElEENSB_INS5_IJSQ_SO_SO_SQ_SG_EEENS5_IJST_SU_SV_SX_SW_EEENS5_IJNSS_IJLi1ELi2EEEESW_SX_NSS_IJLi5ELi6EEEES18_EEENSS_IJLi5ELi7ELi6EEEElEENSB_INS5_IJSK_SO_SO_EEENS5_IJST_SU_SV_EEENS5_IJS1I_SW_SX_EEENSS_IJLi3ELi4EEEElEELi128ELi128ELi16ELi2ELi4ELi4ELi1ENSS_IJLi8ELi2EEEES1S_NSS_IJLi8ELi1ELi1ELi2EEEENSS_IJLi2ELi1ELi128ELi1EEEENSS_IJLi1ELi2ELi0ELi3EEEES1V_NSS_IJLi4ELi1ELi1ELi2EEEES1V_NSS_IJLi1ELi1ELi1ELi2EEEES1T_S1U_S1V_S1V_S1W_S1V_S1X_NSS_IJLi0ELi1ELi2ELi3ELi4ELi5EEEELi5ELi4EEEDF16_NS5_IJPKDF16_EEEDF16_S8_S8_S9_NSB_INS5_IJSE_SG_SI_SG_SG_SK_SG_SM_SM_SO_SO_SQ_SG_SG_NSP_INS5_IJiNS_17integral_constantIiLi128EEEEEELb0EEENSF_INS23_IiLi2EEEEEEEENS5_IJST_SU_SV_SW_SX_SY_SZ_S10_S11_S12_S13_S14_S15_NSS_IJLi15EEEES1C_NSS_IJLi16EEEEEEENS5_IJS17_SX_SY_SZ_S18_S19_S1A_S12_S13_S15_S14_S1B_S1C_NSS_IJLi18EEEENSS_IJLi19ELi20EEEENSS_IJLi21EEEEEEENSS_IJLi18ELi19ELi20ELi21EEEElEENSB_INS5_IJSQ_SO_SO_SQ_SG_SG_S26_S28_EEENS5_IJST_SU_SV_SX_SW_SY_S18_SZ_EEENS5_IJS1I_SW_SX_S1J_S18_NSS_IJLi8EEEENSS_IJLi9ELi10EEEES12_EEENSS_IJLi8ELi9ELi10ELi11EEEElEENS5_IJNSB_INS5_IJSK_SO_SO_NSP_INS5_IJiS27_NS23_IiLi64EEEEEELb0EEES2S_EEENS5_IJST_SU_SV_SW_SX_EEENS5_IJS1I_SW_SX_NSS_IJLi5ELi6ELi7EEEENSS_IJLi8ELi9ELi10EEEEEEENSS_IJLi5ELi6ELi7ELi8ELi9ELi10EEEElEEEEES2Z_NS_31BlockToCTileMap_M00_N00_M01_N01ILi128ELi128ES1R_Lb0EEENS1_30ComputePtrOffsetOfStridedBatchILi1ELi1ELi1EvEELb1ELb1EEEvPKT0_S37_T1_PT2_T3_T4_T5_iT6_T7_T8_T9_T10_T11_.private_seg_size, 0
	.set _ZN2ck16tensor_operation6device12_GLOBAL__N_137kernel_grouped_conv_fwd_dl_multiple_dINS_32GridwiseGemmDlMultipleD_km_kn_mnILi256EDF16_fNS_5TupleIJDF16_EEEDF16_NS0_12element_wise11PassThroughES8_NS7_7AddReluELNS_25InMemoryDataOperationEnumE0ENS_16TensorDescriptorINS5_IJNS_5EmbedINS5_IJiiiEEESD_Lb0EEENS_11PassThroughIiEENS_3PadIiiiLb0EEESG_SG_NSC_INS5_IJiiEEESJ_Lb0EEESG_NS_23Merge_v2_magic_divisionISJ_EESM_NS_8RightPadIiiLb0EEESO_NS_7UnMergeISJ_Lb0EEESG_EEENS5_IJNS_8SequenceIJLi0EEEENSS_IJLi1EEEENSS_IJLi2EEEENSS_IJLi3EEEENSS_IJLi4EEEENSS_IJLi5EEEENSS_IJLi6EEEENSS_IJLi7ELi9EEEENSS_IJLi8ELi10EEEENSS_IJLi11EEEENSS_IJLi12EEEENSS_IJLi14EEEENSS_IJLi13EEEEEEENS5_IJNSS_IJLi1ELi2ELi3EEEESX_SY_SZ_NSS_IJLi7EEEENSS_IJLi8ELi9EEEENSS_IJLi10EEEES12_S13_S15_S14_NSS_IJLi15ELi16EEEENSS_IJLi17EEEEEEENSS_IJLi15ELi17ELi16EEEElEENSB_INS5_IJSQ_SO_SO_SQ_SG_EEENS5_IJST_SU_SV_SX_SW_EEENS5_IJNSS_IJLi1ELi2EEEESW_SX_NSS_IJLi5ELi6EEEES18_EEENSS_IJLi5ELi7ELi6EEEElEENSB_INS5_IJSK_SO_SO_EEENS5_IJST_SU_SV_EEENS5_IJS1I_SW_SX_EEENSS_IJLi3ELi4EEEElEELi128ELi128ELi16ELi2ELi4ELi4ELi1ENSS_IJLi8ELi2EEEES1S_NSS_IJLi8ELi1ELi1ELi2EEEENSS_IJLi2ELi1ELi128ELi1EEEENSS_IJLi1ELi2ELi0ELi3EEEES1V_NSS_IJLi4ELi1ELi1ELi2EEEES1V_NSS_IJLi1ELi1ELi1ELi2EEEES1T_S1U_S1V_S1V_S1W_S1V_S1X_NSS_IJLi0ELi1ELi2ELi3ELi4ELi5EEEELi5ELi4EEEDF16_NS5_IJPKDF16_EEEDF16_S8_S8_S9_NSB_INS5_IJSE_SG_SI_SG_SG_SK_SG_SM_SM_SO_SO_SQ_SG_SG_NSP_INS5_IJiNS_17integral_constantIiLi128EEEEEELb0EEENSF_INS23_IiLi2EEEEEEEENS5_IJST_SU_SV_SW_SX_SY_SZ_S10_S11_S12_S13_S14_S15_NSS_IJLi15EEEES1C_NSS_IJLi16EEEEEEENS5_IJS17_SX_SY_SZ_S18_S19_S1A_S12_S13_S15_S14_S1B_S1C_NSS_IJLi18EEEENSS_IJLi19ELi20EEEENSS_IJLi21EEEEEEENSS_IJLi18ELi19ELi20ELi21EEEElEENSB_INS5_IJSQ_SO_SO_SQ_SG_SG_S26_S28_EEENS5_IJST_SU_SV_SX_SW_SY_S18_SZ_EEENS5_IJS1I_SW_SX_S1J_S18_NSS_IJLi8EEEENSS_IJLi9ELi10EEEES12_EEENSS_IJLi8ELi9ELi10ELi11EEEElEENS5_IJNSB_INS5_IJSK_SO_SO_NSP_INS5_IJiS27_NS23_IiLi64EEEEEELb0EEES2S_EEENS5_IJST_SU_SV_SW_SX_EEENS5_IJS1I_SW_SX_NSS_IJLi5ELi6ELi7EEEENSS_IJLi8ELi9ELi10EEEEEEENSS_IJLi5ELi6ELi7ELi8ELi9ELi10EEEElEEEEES2Z_NS_31BlockToCTileMap_M00_N00_M01_N01ILi128ELi128ES1R_Lb0EEENS1_30ComputePtrOffsetOfStridedBatchILi1ELi1ELi1EvEELb1ELb1EEEvPKT0_S37_T1_PT2_T3_T4_T5_iT6_T7_T8_T9_T10_T11_.uses_vcc, 1
	.set _ZN2ck16tensor_operation6device12_GLOBAL__N_137kernel_grouped_conv_fwd_dl_multiple_dINS_32GridwiseGemmDlMultipleD_km_kn_mnILi256EDF16_fNS_5TupleIJDF16_EEEDF16_NS0_12element_wise11PassThroughES8_NS7_7AddReluELNS_25InMemoryDataOperationEnumE0ENS_16TensorDescriptorINS5_IJNS_5EmbedINS5_IJiiiEEESD_Lb0EEENS_11PassThroughIiEENS_3PadIiiiLb0EEESG_SG_NSC_INS5_IJiiEEESJ_Lb0EEESG_NS_23Merge_v2_magic_divisionISJ_EESM_NS_8RightPadIiiLb0EEESO_NS_7UnMergeISJ_Lb0EEESG_EEENS5_IJNS_8SequenceIJLi0EEEENSS_IJLi1EEEENSS_IJLi2EEEENSS_IJLi3EEEENSS_IJLi4EEEENSS_IJLi5EEEENSS_IJLi6EEEENSS_IJLi7ELi9EEEENSS_IJLi8ELi10EEEENSS_IJLi11EEEENSS_IJLi12EEEENSS_IJLi14EEEENSS_IJLi13EEEEEEENS5_IJNSS_IJLi1ELi2ELi3EEEESX_SY_SZ_NSS_IJLi7EEEENSS_IJLi8ELi9EEEENSS_IJLi10EEEES12_S13_S15_S14_NSS_IJLi15ELi16EEEENSS_IJLi17EEEEEEENSS_IJLi15ELi17ELi16EEEElEENSB_INS5_IJSQ_SO_SO_SQ_SG_EEENS5_IJST_SU_SV_SX_SW_EEENS5_IJNSS_IJLi1ELi2EEEESW_SX_NSS_IJLi5ELi6EEEES18_EEENSS_IJLi5ELi7ELi6EEEElEENSB_INS5_IJSK_SO_SO_EEENS5_IJST_SU_SV_EEENS5_IJS1I_SW_SX_EEENSS_IJLi3ELi4EEEElEELi128ELi128ELi16ELi2ELi4ELi4ELi1ENSS_IJLi8ELi2EEEES1S_NSS_IJLi8ELi1ELi1ELi2EEEENSS_IJLi2ELi1ELi128ELi1EEEENSS_IJLi1ELi2ELi0ELi3EEEES1V_NSS_IJLi4ELi1ELi1ELi2EEEES1V_NSS_IJLi1ELi1ELi1ELi2EEEES1T_S1U_S1V_S1V_S1W_S1V_S1X_NSS_IJLi0ELi1ELi2ELi3ELi4ELi5EEEELi5ELi4EEEDF16_NS5_IJPKDF16_EEEDF16_S8_S8_S9_NSB_INS5_IJSE_SG_SI_SG_SG_SK_SG_SM_SM_SO_SO_SQ_SG_SG_NSP_INS5_IJiNS_17integral_constantIiLi128EEEEEELb0EEENSF_INS23_IiLi2EEEEEEEENS5_IJST_SU_SV_SW_SX_SY_SZ_S10_S11_S12_S13_S14_S15_NSS_IJLi15EEEES1C_NSS_IJLi16EEEEEEENS5_IJS17_SX_SY_SZ_S18_S19_S1A_S12_S13_S15_S14_S1B_S1C_NSS_IJLi18EEEENSS_IJLi19ELi20EEEENSS_IJLi21EEEEEEENSS_IJLi18ELi19ELi20ELi21EEEElEENSB_INS5_IJSQ_SO_SO_SQ_SG_SG_S26_S28_EEENS5_IJST_SU_SV_SX_SW_SY_S18_SZ_EEENS5_IJS1I_SW_SX_S1J_S18_NSS_IJLi8EEEENSS_IJLi9ELi10EEEES12_EEENSS_IJLi8ELi9ELi10ELi11EEEElEENS5_IJNSB_INS5_IJSK_SO_SO_NSP_INS5_IJiS27_NS23_IiLi64EEEEEELb0EEES2S_EEENS5_IJST_SU_SV_SW_SX_EEENS5_IJS1I_SW_SX_NSS_IJLi5ELi6ELi7EEEENSS_IJLi8ELi9ELi10EEEEEEENSS_IJLi5ELi6ELi7ELi8ELi9ELi10EEEElEEEEES2Z_NS_31BlockToCTileMap_M00_N00_M01_N01ILi128ELi128ES1R_Lb0EEENS1_30ComputePtrOffsetOfStridedBatchILi1ELi1ELi1EvEELb1ELb1EEEvPKT0_S37_T1_PT2_T3_T4_T5_iT6_T7_T8_T9_T10_T11_.uses_flat_scratch, 0
	.set _ZN2ck16tensor_operation6device12_GLOBAL__N_137kernel_grouped_conv_fwd_dl_multiple_dINS_32GridwiseGemmDlMultipleD_km_kn_mnILi256EDF16_fNS_5TupleIJDF16_EEEDF16_NS0_12element_wise11PassThroughES8_NS7_7AddReluELNS_25InMemoryDataOperationEnumE0ENS_16TensorDescriptorINS5_IJNS_5EmbedINS5_IJiiiEEESD_Lb0EEENS_11PassThroughIiEENS_3PadIiiiLb0EEESG_SG_NSC_INS5_IJiiEEESJ_Lb0EEESG_NS_23Merge_v2_magic_divisionISJ_EESM_NS_8RightPadIiiLb0EEESO_NS_7UnMergeISJ_Lb0EEESG_EEENS5_IJNS_8SequenceIJLi0EEEENSS_IJLi1EEEENSS_IJLi2EEEENSS_IJLi3EEEENSS_IJLi4EEEENSS_IJLi5EEEENSS_IJLi6EEEENSS_IJLi7ELi9EEEENSS_IJLi8ELi10EEEENSS_IJLi11EEEENSS_IJLi12EEEENSS_IJLi14EEEENSS_IJLi13EEEEEEENS5_IJNSS_IJLi1ELi2ELi3EEEESX_SY_SZ_NSS_IJLi7EEEENSS_IJLi8ELi9EEEENSS_IJLi10EEEES12_S13_S15_S14_NSS_IJLi15ELi16EEEENSS_IJLi17EEEEEEENSS_IJLi15ELi17ELi16EEEElEENSB_INS5_IJSQ_SO_SO_SQ_SG_EEENS5_IJST_SU_SV_SX_SW_EEENS5_IJNSS_IJLi1ELi2EEEESW_SX_NSS_IJLi5ELi6EEEES18_EEENSS_IJLi5ELi7ELi6EEEElEENSB_INS5_IJSK_SO_SO_EEENS5_IJST_SU_SV_EEENS5_IJS1I_SW_SX_EEENSS_IJLi3ELi4EEEElEELi128ELi128ELi16ELi2ELi4ELi4ELi1ENSS_IJLi8ELi2EEEES1S_NSS_IJLi8ELi1ELi1ELi2EEEENSS_IJLi2ELi1ELi128ELi1EEEENSS_IJLi1ELi2ELi0ELi3EEEES1V_NSS_IJLi4ELi1ELi1ELi2EEEES1V_NSS_IJLi1ELi1ELi1ELi2EEEES1T_S1U_S1V_S1V_S1W_S1V_S1X_NSS_IJLi0ELi1ELi2ELi3ELi4ELi5EEEELi5ELi4EEEDF16_NS5_IJPKDF16_EEEDF16_S8_S8_S9_NSB_INS5_IJSE_SG_SI_SG_SG_SK_SG_SM_SM_SO_SO_SQ_SG_SG_NSP_INS5_IJiNS_17integral_constantIiLi128EEEEEELb0EEENSF_INS23_IiLi2EEEEEEEENS5_IJST_SU_SV_SW_SX_SY_SZ_S10_S11_S12_S13_S14_S15_NSS_IJLi15EEEES1C_NSS_IJLi16EEEEEEENS5_IJS17_SX_SY_SZ_S18_S19_S1A_S12_S13_S15_S14_S1B_S1C_NSS_IJLi18EEEENSS_IJLi19ELi20EEEENSS_IJLi21EEEEEEENSS_IJLi18ELi19ELi20ELi21EEEElEENSB_INS5_IJSQ_SO_SO_SQ_SG_SG_S26_S28_EEENS5_IJST_SU_SV_SX_SW_SY_S18_SZ_EEENS5_IJS1I_SW_SX_S1J_S18_NSS_IJLi8EEEENSS_IJLi9ELi10EEEES12_EEENSS_IJLi8ELi9ELi10ELi11EEEElEENS5_IJNSB_INS5_IJSK_SO_SO_NSP_INS5_IJiS27_NS23_IiLi64EEEEEELb0EEES2S_EEENS5_IJST_SU_SV_SW_SX_EEENS5_IJS1I_SW_SX_NSS_IJLi5ELi6ELi7EEEENSS_IJLi8ELi9ELi10EEEEEEENSS_IJLi5ELi6ELi7ELi8ELi9ELi10EEEElEEEEES2Z_NS_31BlockToCTileMap_M00_N00_M01_N01ILi128ELi128ES1R_Lb0EEENS1_30ComputePtrOffsetOfStridedBatchILi1ELi1ELi1EvEELb1ELb1EEEvPKT0_S37_T1_PT2_T3_T4_T5_iT6_T7_T8_T9_T10_T11_.has_dyn_sized_stack, 0
	.set _ZN2ck16tensor_operation6device12_GLOBAL__N_137kernel_grouped_conv_fwd_dl_multiple_dINS_32GridwiseGemmDlMultipleD_km_kn_mnILi256EDF16_fNS_5TupleIJDF16_EEEDF16_NS0_12element_wise11PassThroughES8_NS7_7AddReluELNS_25InMemoryDataOperationEnumE0ENS_16TensorDescriptorINS5_IJNS_5EmbedINS5_IJiiiEEESD_Lb0EEENS_11PassThroughIiEENS_3PadIiiiLb0EEESG_SG_NSC_INS5_IJiiEEESJ_Lb0EEESG_NS_23Merge_v2_magic_divisionISJ_EESM_NS_8RightPadIiiLb0EEESO_NS_7UnMergeISJ_Lb0EEESG_EEENS5_IJNS_8SequenceIJLi0EEEENSS_IJLi1EEEENSS_IJLi2EEEENSS_IJLi3EEEENSS_IJLi4EEEENSS_IJLi5EEEENSS_IJLi6EEEENSS_IJLi7ELi9EEEENSS_IJLi8ELi10EEEENSS_IJLi11EEEENSS_IJLi12EEEENSS_IJLi14EEEENSS_IJLi13EEEEEEENS5_IJNSS_IJLi1ELi2ELi3EEEESX_SY_SZ_NSS_IJLi7EEEENSS_IJLi8ELi9EEEENSS_IJLi10EEEES12_S13_S15_S14_NSS_IJLi15ELi16EEEENSS_IJLi17EEEEEEENSS_IJLi15ELi17ELi16EEEElEENSB_INS5_IJSQ_SO_SO_SQ_SG_EEENS5_IJST_SU_SV_SX_SW_EEENS5_IJNSS_IJLi1ELi2EEEESW_SX_NSS_IJLi5ELi6EEEES18_EEENSS_IJLi5ELi7ELi6EEEElEENSB_INS5_IJSK_SO_SO_EEENS5_IJST_SU_SV_EEENS5_IJS1I_SW_SX_EEENSS_IJLi3ELi4EEEElEELi128ELi128ELi16ELi2ELi4ELi4ELi1ENSS_IJLi8ELi2EEEES1S_NSS_IJLi8ELi1ELi1ELi2EEEENSS_IJLi2ELi1ELi128ELi1EEEENSS_IJLi1ELi2ELi0ELi3EEEES1V_NSS_IJLi4ELi1ELi1ELi2EEEES1V_NSS_IJLi1ELi1ELi1ELi2EEEES1T_S1U_S1V_S1V_S1W_S1V_S1X_NSS_IJLi0ELi1ELi2ELi3ELi4ELi5EEEELi5ELi4EEEDF16_NS5_IJPKDF16_EEEDF16_S8_S8_S9_NSB_INS5_IJSE_SG_SI_SG_SG_SK_SG_SM_SM_SO_SO_SQ_SG_SG_NSP_INS5_IJiNS_17integral_constantIiLi128EEEEEELb0EEENSF_INS23_IiLi2EEEEEEEENS5_IJST_SU_SV_SW_SX_SY_SZ_S10_S11_S12_S13_S14_S15_NSS_IJLi15EEEES1C_NSS_IJLi16EEEEEEENS5_IJS17_SX_SY_SZ_S18_S19_S1A_S12_S13_S15_S14_S1B_S1C_NSS_IJLi18EEEENSS_IJLi19ELi20EEEENSS_IJLi21EEEEEEENSS_IJLi18ELi19ELi20ELi21EEEElEENSB_INS5_IJSQ_SO_SO_SQ_SG_SG_S26_S28_EEENS5_IJST_SU_SV_SX_SW_SY_S18_SZ_EEENS5_IJS1I_SW_SX_S1J_S18_NSS_IJLi8EEEENSS_IJLi9ELi10EEEES12_EEENSS_IJLi8ELi9ELi10ELi11EEEElEENS5_IJNSB_INS5_IJSK_SO_SO_NSP_INS5_IJiS27_NS23_IiLi64EEEEEELb0EEES2S_EEENS5_IJST_SU_SV_SW_SX_EEENS5_IJS1I_SW_SX_NSS_IJLi5ELi6ELi7EEEENSS_IJLi8ELi9ELi10EEEEEEENSS_IJLi5ELi6ELi7ELi8ELi9ELi10EEEElEEEEES2Z_NS_31BlockToCTileMap_M00_N00_M01_N01ILi128ELi128ES1R_Lb0EEENS1_30ComputePtrOffsetOfStridedBatchILi1ELi1ELi1EvEELb1ELb1EEEvPKT0_S37_T1_PT2_T3_T4_T5_iT6_T7_T8_T9_T10_T11_.has_recursion, 0
	.set _ZN2ck16tensor_operation6device12_GLOBAL__N_137kernel_grouped_conv_fwd_dl_multiple_dINS_32GridwiseGemmDlMultipleD_km_kn_mnILi256EDF16_fNS_5TupleIJDF16_EEEDF16_NS0_12element_wise11PassThroughES8_NS7_7AddReluELNS_25InMemoryDataOperationEnumE0ENS_16TensorDescriptorINS5_IJNS_5EmbedINS5_IJiiiEEESD_Lb0EEENS_11PassThroughIiEENS_3PadIiiiLb0EEESG_SG_NSC_INS5_IJiiEEESJ_Lb0EEESG_NS_23Merge_v2_magic_divisionISJ_EESM_NS_8RightPadIiiLb0EEESO_NS_7UnMergeISJ_Lb0EEESG_EEENS5_IJNS_8SequenceIJLi0EEEENSS_IJLi1EEEENSS_IJLi2EEEENSS_IJLi3EEEENSS_IJLi4EEEENSS_IJLi5EEEENSS_IJLi6EEEENSS_IJLi7ELi9EEEENSS_IJLi8ELi10EEEENSS_IJLi11EEEENSS_IJLi12EEEENSS_IJLi14EEEENSS_IJLi13EEEEEEENS5_IJNSS_IJLi1ELi2ELi3EEEESX_SY_SZ_NSS_IJLi7EEEENSS_IJLi8ELi9EEEENSS_IJLi10EEEES12_S13_S15_S14_NSS_IJLi15ELi16EEEENSS_IJLi17EEEEEEENSS_IJLi15ELi17ELi16EEEElEENSB_INS5_IJSQ_SO_SO_SQ_SG_EEENS5_IJST_SU_SV_SX_SW_EEENS5_IJNSS_IJLi1ELi2EEEESW_SX_NSS_IJLi5ELi6EEEES18_EEENSS_IJLi5ELi7ELi6EEEElEENSB_INS5_IJSK_SO_SO_EEENS5_IJST_SU_SV_EEENS5_IJS1I_SW_SX_EEENSS_IJLi3ELi4EEEElEELi128ELi128ELi16ELi2ELi4ELi4ELi1ENSS_IJLi8ELi2EEEES1S_NSS_IJLi8ELi1ELi1ELi2EEEENSS_IJLi2ELi1ELi128ELi1EEEENSS_IJLi1ELi2ELi0ELi3EEEES1V_NSS_IJLi4ELi1ELi1ELi2EEEES1V_NSS_IJLi1ELi1ELi1ELi2EEEES1T_S1U_S1V_S1V_S1W_S1V_S1X_NSS_IJLi0ELi1ELi2ELi3ELi4ELi5EEEELi5ELi4EEEDF16_NS5_IJPKDF16_EEEDF16_S8_S8_S9_NSB_INS5_IJSE_SG_SI_SG_SG_SK_SG_SM_SM_SO_SO_SQ_SG_SG_NSP_INS5_IJiNS_17integral_constantIiLi128EEEEEELb0EEENSF_INS23_IiLi2EEEEEEEENS5_IJST_SU_SV_SW_SX_SY_SZ_S10_S11_S12_S13_S14_S15_NSS_IJLi15EEEES1C_NSS_IJLi16EEEEEEENS5_IJS17_SX_SY_SZ_S18_S19_S1A_S12_S13_S15_S14_S1B_S1C_NSS_IJLi18EEEENSS_IJLi19ELi20EEEENSS_IJLi21EEEEEEENSS_IJLi18ELi19ELi20ELi21EEEElEENSB_INS5_IJSQ_SO_SO_SQ_SG_SG_S26_S28_EEENS5_IJST_SU_SV_SX_SW_SY_S18_SZ_EEENS5_IJS1I_SW_SX_S1J_S18_NSS_IJLi8EEEENSS_IJLi9ELi10EEEES12_EEENSS_IJLi8ELi9ELi10ELi11EEEElEENS5_IJNSB_INS5_IJSK_SO_SO_NSP_INS5_IJiS27_NS23_IiLi64EEEEEELb0EEES2S_EEENS5_IJST_SU_SV_SW_SX_EEENS5_IJS1I_SW_SX_NSS_IJLi5ELi6ELi7EEEENSS_IJLi8ELi9ELi10EEEEEEENSS_IJLi5ELi6ELi7ELi8ELi9ELi10EEEElEEEEES2Z_NS_31BlockToCTileMap_M00_N00_M01_N01ILi128ELi128ES1R_Lb0EEENS1_30ComputePtrOffsetOfStridedBatchILi1ELi1ELi1EvEELb1ELb1EEEvPKT0_S37_T1_PT2_T3_T4_T5_iT6_T7_T8_T9_T10_T11_.has_indirect_call, 0
	.section	.AMDGPU.csdata,"",@progbits
; Kernel info:
; codeLenInByte = 25360
; TotalNumSgprs: 70
; NumVgprs: 126
; NumAgprs: 0
; TotalNumVgprs: 126
; ScratchSize: 0
; MemoryBound: 0
; FloatMode: 240
; IeeeMode: 1
; LDSByteSize: 32768 bytes/workgroup (compile time only)
; SGPRBlocks: 12
; VGPRBlocks: 15
; NumSGPRsForWavesPerEU: 102
; NumVGPRsForWavesPerEU: 126
; AccumOffset: 128
; Occupancy: 4
; WaveLimiterHint : 0
; COMPUTE_PGM_RSRC2:SCRATCH_EN: 0
; COMPUTE_PGM_RSRC2:USER_SGPR: 2
; COMPUTE_PGM_RSRC2:TRAP_HANDLER: 0
; COMPUTE_PGM_RSRC2:TGID_X_EN: 1
; COMPUTE_PGM_RSRC2:TGID_Y_EN: 0
; COMPUTE_PGM_RSRC2:TGID_Z_EN: 0
; COMPUTE_PGM_RSRC2:TIDIG_COMP_CNT: 0
; COMPUTE_PGM_RSRC3_GFX90A:ACCUM_OFFSET: 31
; COMPUTE_PGM_RSRC3_GFX90A:TG_SPLIT: 0
	.section	.text._ZN2ck16tensor_operation6device12_GLOBAL__N_137kernel_grouped_conv_fwd_dl_multiple_dINS_32GridwiseGemmDlMultipleD_km_kn_mnILi256EDF16_fNS_5TupleIJDF16_EEEDF16_NS0_12element_wise11PassThroughES8_NS7_7AddReluELNS_25InMemoryDataOperationEnumE0ENS_16TensorDescriptorINS5_IJNS_5EmbedINS5_IJiiiEEESD_Lb0EEENS_11PassThroughIiEENS_3PadIiiiLb0EEESG_SG_NSC_INS5_IJiiEEESJ_Lb0EEESG_NS_23Merge_v2_magic_divisionISJ_EESM_NS_8RightPadIiiLb0EEESO_NS_7UnMergeISJ_Lb0EEESG_EEENS5_IJNS_8SequenceIJLi0EEEENSS_IJLi1EEEENSS_IJLi2EEEENSS_IJLi3EEEENSS_IJLi4EEEENSS_IJLi5EEEENSS_IJLi6EEEENSS_IJLi7ELi9EEEENSS_IJLi8ELi10EEEENSS_IJLi11EEEENSS_IJLi12EEEENSS_IJLi14EEEENSS_IJLi13EEEEEEENS5_IJNSS_IJLi1ELi2ELi3EEEESX_SY_SZ_NSS_IJLi7EEEENSS_IJLi8ELi9EEEENSS_IJLi10EEEES12_S13_S15_S14_NSS_IJLi15ELi16EEEENSS_IJLi17EEEEEEENSS_IJLi15ELi17ELi16EEEElEENSB_INS5_IJSQ_SO_SO_SQ_SG_EEENS5_IJST_SU_SV_SX_SW_EEENS5_IJNSS_IJLi1ELi2EEEESW_SX_NSS_IJLi5ELi6EEEES18_EEENSS_IJLi5ELi7ELi6EEEElEENSB_INS5_IJSK_SO_SO_EEENS5_IJST_SU_SV_EEENS5_IJS1I_SW_SX_EEENSS_IJLi3ELi4EEEElEELi128ELi128ELi16ELi2ELi4ELi4ELi1ENSS_IJLi8ELi2EEEES1S_NSS_IJLi8ELi1ELi1ELi2EEEENSS_IJLi2ELi1ELi128ELi1EEEENSS_IJLi1ELi2ELi0ELi3EEEES1V_NSS_IJLi4ELi1ELi1ELi2EEEES1V_NSS_IJLi1ELi1ELi1ELi2EEEES1T_S1U_S1V_S1V_S1W_S1V_S1X_NSS_IJLi0ELi1ELi2ELi3ELi4ELi5EEEELi5ELi4EEEDF16_NS5_IJPKDF16_EEEDF16_S8_S8_S9_NSB_INS5_IJSE_SG_SI_SG_SG_SK_SG_SM_SM_SO_SO_SQ_SG_SG_NSP_INS5_IJiNS_17integral_constantIiLi128EEEEEELb0EEENSF_INS23_IiLi2EEEEEEEENS5_IJST_SU_SV_SW_SX_SY_SZ_S10_S11_S12_S13_S14_S15_NSS_IJLi15EEEES1C_NSS_IJLi16EEEEEEENS5_IJS17_SX_SY_SZ_S18_S19_S1A_S12_S13_S15_S14_S1B_S1C_NSS_IJLi18EEEENSS_IJLi19ELi20EEEENSS_IJLi21EEEEEEENSS_IJLi18ELi19ELi20ELi21EEEElEENSB_INS5_IJSQ_SO_SO_SQ_SG_SG_S26_S28_EEENS5_IJST_SU_SV_SX_SW_SY_S18_SZ_EEENS5_IJS1I_SW_SX_S1J_S18_NSS_IJLi8EEEENSS_IJLi9ELi10EEEES12_EEENSS_IJLi8ELi9ELi10ELi11EEEElEENS5_IJNSB_INS5_IJSK_SO_SO_NSP_INS5_IJiS27_NS23_IiLi64EEEEEELb0EEES2S_EEENS5_IJST_SU_SV_SW_SX_EEENS5_IJS1I_SW_SX_NSS_IJLi5ELi6ELi7EEEENSS_IJLi8ELi9ELi10EEEEEEENSS_IJLi5ELi6ELi7ELi8ELi9ELi10EEEElEEEEES2Z_NS_31BlockToCTileMap_M00_N00_M01_N01ILi128ELi128ES1R_Lb0EEENS1_30ComputePtrOffsetOfStridedBatchILi1ELi1ELi1EvEELb1ELb0EEEvPKT0_S37_T1_PT2_T3_T4_T5_iT6_T7_T8_T9_T10_T11_,"axG",@progbits,_ZN2ck16tensor_operation6device12_GLOBAL__N_137kernel_grouped_conv_fwd_dl_multiple_dINS_32GridwiseGemmDlMultipleD_km_kn_mnILi256EDF16_fNS_5TupleIJDF16_EEEDF16_NS0_12element_wise11PassThroughES8_NS7_7AddReluELNS_25InMemoryDataOperationEnumE0ENS_16TensorDescriptorINS5_IJNS_5EmbedINS5_IJiiiEEESD_Lb0EEENS_11PassThroughIiEENS_3PadIiiiLb0EEESG_SG_NSC_INS5_IJiiEEESJ_Lb0EEESG_NS_23Merge_v2_magic_divisionISJ_EESM_NS_8RightPadIiiLb0EEESO_NS_7UnMergeISJ_Lb0EEESG_EEENS5_IJNS_8SequenceIJLi0EEEENSS_IJLi1EEEENSS_IJLi2EEEENSS_IJLi3EEEENSS_IJLi4EEEENSS_IJLi5EEEENSS_IJLi6EEEENSS_IJLi7ELi9EEEENSS_IJLi8ELi10EEEENSS_IJLi11EEEENSS_IJLi12EEEENSS_IJLi14EEEENSS_IJLi13EEEEEEENS5_IJNSS_IJLi1ELi2ELi3EEEESX_SY_SZ_NSS_IJLi7EEEENSS_IJLi8ELi9EEEENSS_IJLi10EEEES12_S13_S15_S14_NSS_IJLi15ELi16EEEENSS_IJLi17EEEEEEENSS_IJLi15ELi17ELi16EEEElEENSB_INS5_IJSQ_SO_SO_SQ_SG_EEENS5_IJST_SU_SV_SX_SW_EEENS5_IJNSS_IJLi1ELi2EEEESW_SX_NSS_IJLi5ELi6EEEES18_EEENSS_IJLi5ELi7ELi6EEEElEENSB_INS5_IJSK_SO_SO_EEENS5_IJST_SU_SV_EEENS5_IJS1I_SW_SX_EEENSS_IJLi3ELi4EEEElEELi128ELi128ELi16ELi2ELi4ELi4ELi1ENSS_IJLi8ELi2EEEES1S_NSS_IJLi8ELi1ELi1ELi2EEEENSS_IJLi2ELi1ELi128ELi1EEEENSS_IJLi1ELi2ELi0ELi3EEEES1V_NSS_IJLi4ELi1ELi1ELi2EEEES1V_NSS_IJLi1ELi1ELi1ELi2EEEES1T_S1U_S1V_S1V_S1W_S1V_S1X_NSS_IJLi0ELi1ELi2ELi3ELi4ELi5EEEELi5ELi4EEEDF16_NS5_IJPKDF16_EEEDF16_S8_S8_S9_NSB_INS5_IJSE_SG_SI_SG_SG_SK_SG_SM_SM_SO_SO_SQ_SG_SG_NSP_INS5_IJiNS_17integral_constantIiLi128EEEEEELb0EEENSF_INS23_IiLi2EEEEEEEENS5_IJST_SU_SV_SW_SX_SY_SZ_S10_S11_S12_S13_S14_S15_NSS_IJLi15EEEES1C_NSS_IJLi16EEEEEEENS5_IJS17_SX_SY_SZ_S18_S19_S1A_S12_S13_S15_S14_S1B_S1C_NSS_IJLi18EEEENSS_IJLi19ELi20EEEENSS_IJLi21EEEEEEENSS_IJLi18ELi19ELi20ELi21EEEElEENSB_INS5_IJSQ_SO_SO_SQ_SG_SG_S26_S28_EEENS5_IJST_SU_SV_SX_SW_SY_S18_SZ_EEENS5_IJS1I_SW_SX_S1J_S18_NSS_IJLi8EEEENSS_IJLi9ELi10EEEES12_EEENSS_IJLi8ELi9ELi10ELi11EEEElEENS5_IJNSB_INS5_IJSK_SO_SO_NSP_INS5_IJiS27_NS23_IiLi64EEEEEELb0EEES2S_EEENS5_IJST_SU_SV_SW_SX_EEENS5_IJS1I_SW_SX_NSS_IJLi5ELi6ELi7EEEENSS_IJLi8ELi9ELi10EEEEEEENSS_IJLi5ELi6ELi7ELi8ELi9ELi10EEEElEEEEES2Z_NS_31BlockToCTileMap_M00_N00_M01_N01ILi128ELi128ES1R_Lb0EEENS1_30ComputePtrOffsetOfStridedBatchILi1ELi1ELi1EvEELb1ELb0EEEvPKT0_S37_T1_PT2_T3_T4_T5_iT6_T7_T8_T9_T10_T11_,comdat
	.globl	_ZN2ck16tensor_operation6device12_GLOBAL__N_137kernel_grouped_conv_fwd_dl_multiple_dINS_32GridwiseGemmDlMultipleD_km_kn_mnILi256EDF16_fNS_5TupleIJDF16_EEEDF16_NS0_12element_wise11PassThroughES8_NS7_7AddReluELNS_25InMemoryDataOperationEnumE0ENS_16TensorDescriptorINS5_IJNS_5EmbedINS5_IJiiiEEESD_Lb0EEENS_11PassThroughIiEENS_3PadIiiiLb0EEESG_SG_NSC_INS5_IJiiEEESJ_Lb0EEESG_NS_23Merge_v2_magic_divisionISJ_EESM_NS_8RightPadIiiLb0EEESO_NS_7UnMergeISJ_Lb0EEESG_EEENS5_IJNS_8SequenceIJLi0EEEENSS_IJLi1EEEENSS_IJLi2EEEENSS_IJLi3EEEENSS_IJLi4EEEENSS_IJLi5EEEENSS_IJLi6EEEENSS_IJLi7ELi9EEEENSS_IJLi8ELi10EEEENSS_IJLi11EEEENSS_IJLi12EEEENSS_IJLi14EEEENSS_IJLi13EEEEEEENS5_IJNSS_IJLi1ELi2ELi3EEEESX_SY_SZ_NSS_IJLi7EEEENSS_IJLi8ELi9EEEENSS_IJLi10EEEES12_S13_S15_S14_NSS_IJLi15ELi16EEEENSS_IJLi17EEEEEEENSS_IJLi15ELi17ELi16EEEElEENSB_INS5_IJSQ_SO_SO_SQ_SG_EEENS5_IJST_SU_SV_SX_SW_EEENS5_IJNSS_IJLi1ELi2EEEESW_SX_NSS_IJLi5ELi6EEEES18_EEENSS_IJLi5ELi7ELi6EEEElEENSB_INS5_IJSK_SO_SO_EEENS5_IJST_SU_SV_EEENS5_IJS1I_SW_SX_EEENSS_IJLi3ELi4EEEElEELi128ELi128ELi16ELi2ELi4ELi4ELi1ENSS_IJLi8ELi2EEEES1S_NSS_IJLi8ELi1ELi1ELi2EEEENSS_IJLi2ELi1ELi128ELi1EEEENSS_IJLi1ELi2ELi0ELi3EEEES1V_NSS_IJLi4ELi1ELi1ELi2EEEES1V_NSS_IJLi1ELi1ELi1ELi2EEEES1T_S1U_S1V_S1V_S1W_S1V_S1X_NSS_IJLi0ELi1ELi2ELi3ELi4ELi5EEEELi5ELi4EEEDF16_NS5_IJPKDF16_EEEDF16_S8_S8_S9_NSB_INS5_IJSE_SG_SI_SG_SG_SK_SG_SM_SM_SO_SO_SQ_SG_SG_NSP_INS5_IJiNS_17integral_constantIiLi128EEEEEELb0EEENSF_INS23_IiLi2EEEEEEEENS5_IJST_SU_SV_SW_SX_SY_SZ_S10_S11_S12_S13_S14_S15_NSS_IJLi15EEEES1C_NSS_IJLi16EEEEEEENS5_IJS17_SX_SY_SZ_S18_S19_S1A_S12_S13_S15_S14_S1B_S1C_NSS_IJLi18EEEENSS_IJLi19ELi20EEEENSS_IJLi21EEEEEEENSS_IJLi18ELi19ELi20ELi21EEEElEENSB_INS5_IJSQ_SO_SO_SQ_SG_SG_S26_S28_EEENS5_IJST_SU_SV_SX_SW_SY_S18_SZ_EEENS5_IJS1I_SW_SX_S1J_S18_NSS_IJLi8EEEENSS_IJLi9ELi10EEEES12_EEENSS_IJLi8ELi9ELi10ELi11EEEElEENS5_IJNSB_INS5_IJSK_SO_SO_NSP_INS5_IJiS27_NS23_IiLi64EEEEEELb0EEES2S_EEENS5_IJST_SU_SV_SW_SX_EEENS5_IJS1I_SW_SX_NSS_IJLi5ELi6ELi7EEEENSS_IJLi8ELi9ELi10EEEEEEENSS_IJLi5ELi6ELi7ELi8ELi9ELi10EEEElEEEEES2Z_NS_31BlockToCTileMap_M00_N00_M01_N01ILi128ELi128ES1R_Lb0EEENS1_30ComputePtrOffsetOfStridedBatchILi1ELi1ELi1EvEELb1ELb0EEEvPKT0_S37_T1_PT2_T3_T4_T5_iT6_T7_T8_T9_T10_T11_ ; -- Begin function _ZN2ck16tensor_operation6device12_GLOBAL__N_137kernel_grouped_conv_fwd_dl_multiple_dINS_32GridwiseGemmDlMultipleD_km_kn_mnILi256EDF16_fNS_5TupleIJDF16_EEEDF16_NS0_12element_wise11PassThroughES8_NS7_7AddReluELNS_25InMemoryDataOperationEnumE0ENS_16TensorDescriptorINS5_IJNS_5EmbedINS5_IJiiiEEESD_Lb0EEENS_11PassThroughIiEENS_3PadIiiiLb0EEESG_SG_NSC_INS5_IJiiEEESJ_Lb0EEESG_NS_23Merge_v2_magic_divisionISJ_EESM_NS_8RightPadIiiLb0EEESO_NS_7UnMergeISJ_Lb0EEESG_EEENS5_IJNS_8SequenceIJLi0EEEENSS_IJLi1EEEENSS_IJLi2EEEENSS_IJLi3EEEENSS_IJLi4EEEENSS_IJLi5EEEENSS_IJLi6EEEENSS_IJLi7ELi9EEEENSS_IJLi8ELi10EEEENSS_IJLi11EEEENSS_IJLi12EEEENSS_IJLi14EEEENSS_IJLi13EEEEEEENS5_IJNSS_IJLi1ELi2ELi3EEEESX_SY_SZ_NSS_IJLi7EEEENSS_IJLi8ELi9EEEENSS_IJLi10EEEES12_S13_S15_S14_NSS_IJLi15ELi16EEEENSS_IJLi17EEEEEEENSS_IJLi15ELi17ELi16EEEElEENSB_INS5_IJSQ_SO_SO_SQ_SG_EEENS5_IJST_SU_SV_SX_SW_EEENS5_IJNSS_IJLi1ELi2EEEESW_SX_NSS_IJLi5ELi6EEEES18_EEENSS_IJLi5ELi7ELi6EEEElEENSB_INS5_IJSK_SO_SO_EEENS5_IJST_SU_SV_EEENS5_IJS1I_SW_SX_EEENSS_IJLi3ELi4EEEElEELi128ELi128ELi16ELi2ELi4ELi4ELi1ENSS_IJLi8ELi2EEEES1S_NSS_IJLi8ELi1ELi1ELi2EEEENSS_IJLi2ELi1ELi128ELi1EEEENSS_IJLi1ELi2ELi0ELi3EEEES1V_NSS_IJLi4ELi1ELi1ELi2EEEES1V_NSS_IJLi1ELi1ELi1ELi2EEEES1T_S1U_S1V_S1V_S1W_S1V_S1X_NSS_IJLi0ELi1ELi2ELi3ELi4ELi5EEEELi5ELi4EEEDF16_NS5_IJPKDF16_EEEDF16_S8_S8_S9_NSB_INS5_IJSE_SG_SI_SG_SG_SK_SG_SM_SM_SO_SO_SQ_SG_SG_NSP_INS5_IJiNS_17integral_constantIiLi128EEEEEELb0EEENSF_INS23_IiLi2EEEEEEEENS5_IJST_SU_SV_SW_SX_SY_SZ_S10_S11_S12_S13_S14_S15_NSS_IJLi15EEEES1C_NSS_IJLi16EEEEEEENS5_IJS17_SX_SY_SZ_S18_S19_S1A_S12_S13_S15_S14_S1B_S1C_NSS_IJLi18EEEENSS_IJLi19ELi20EEEENSS_IJLi21EEEEEEENSS_IJLi18ELi19ELi20ELi21EEEElEENSB_INS5_IJSQ_SO_SO_SQ_SG_SG_S26_S28_EEENS5_IJST_SU_SV_SX_SW_SY_S18_SZ_EEENS5_IJS1I_SW_SX_S1J_S18_NSS_IJLi8EEEENSS_IJLi9ELi10EEEES12_EEENSS_IJLi8ELi9ELi10ELi11EEEElEENS5_IJNSB_INS5_IJSK_SO_SO_NSP_INS5_IJiS27_NS23_IiLi64EEEEEELb0EEES2S_EEENS5_IJST_SU_SV_SW_SX_EEENS5_IJS1I_SW_SX_NSS_IJLi5ELi6ELi7EEEENSS_IJLi8ELi9ELi10EEEEEEENSS_IJLi5ELi6ELi7ELi8ELi9ELi10EEEElEEEEES2Z_NS_31BlockToCTileMap_M00_N00_M01_N01ILi128ELi128ES1R_Lb0EEENS1_30ComputePtrOffsetOfStridedBatchILi1ELi1ELi1EvEELb1ELb0EEEvPKT0_S37_T1_PT2_T3_T4_T5_iT6_T7_T8_T9_T10_T11_
	.p2align	8
	.type	_ZN2ck16tensor_operation6device12_GLOBAL__N_137kernel_grouped_conv_fwd_dl_multiple_dINS_32GridwiseGemmDlMultipleD_km_kn_mnILi256EDF16_fNS_5TupleIJDF16_EEEDF16_NS0_12element_wise11PassThroughES8_NS7_7AddReluELNS_25InMemoryDataOperationEnumE0ENS_16TensorDescriptorINS5_IJNS_5EmbedINS5_IJiiiEEESD_Lb0EEENS_11PassThroughIiEENS_3PadIiiiLb0EEESG_SG_NSC_INS5_IJiiEEESJ_Lb0EEESG_NS_23Merge_v2_magic_divisionISJ_EESM_NS_8RightPadIiiLb0EEESO_NS_7UnMergeISJ_Lb0EEESG_EEENS5_IJNS_8SequenceIJLi0EEEENSS_IJLi1EEEENSS_IJLi2EEEENSS_IJLi3EEEENSS_IJLi4EEEENSS_IJLi5EEEENSS_IJLi6EEEENSS_IJLi7ELi9EEEENSS_IJLi8ELi10EEEENSS_IJLi11EEEENSS_IJLi12EEEENSS_IJLi14EEEENSS_IJLi13EEEEEEENS5_IJNSS_IJLi1ELi2ELi3EEEESX_SY_SZ_NSS_IJLi7EEEENSS_IJLi8ELi9EEEENSS_IJLi10EEEES12_S13_S15_S14_NSS_IJLi15ELi16EEEENSS_IJLi17EEEEEEENSS_IJLi15ELi17ELi16EEEElEENSB_INS5_IJSQ_SO_SO_SQ_SG_EEENS5_IJST_SU_SV_SX_SW_EEENS5_IJNSS_IJLi1ELi2EEEESW_SX_NSS_IJLi5ELi6EEEES18_EEENSS_IJLi5ELi7ELi6EEEElEENSB_INS5_IJSK_SO_SO_EEENS5_IJST_SU_SV_EEENS5_IJS1I_SW_SX_EEENSS_IJLi3ELi4EEEElEELi128ELi128ELi16ELi2ELi4ELi4ELi1ENSS_IJLi8ELi2EEEES1S_NSS_IJLi8ELi1ELi1ELi2EEEENSS_IJLi2ELi1ELi128ELi1EEEENSS_IJLi1ELi2ELi0ELi3EEEES1V_NSS_IJLi4ELi1ELi1ELi2EEEES1V_NSS_IJLi1ELi1ELi1ELi2EEEES1T_S1U_S1V_S1V_S1W_S1V_S1X_NSS_IJLi0ELi1ELi2ELi3ELi4ELi5EEEELi5ELi4EEEDF16_NS5_IJPKDF16_EEEDF16_S8_S8_S9_NSB_INS5_IJSE_SG_SI_SG_SG_SK_SG_SM_SM_SO_SO_SQ_SG_SG_NSP_INS5_IJiNS_17integral_constantIiLi128EEEEEELb0EEENSF_INS23_IiLi2EEEEEEEENS5_IJST_SU_SV_SW_SX_SY_SZ_S10_S11_S12_S13_S14_S15_NSS_IJLi15EEEES1C_NSS_IJLi16EEEEEEENS5_IJS17_SX_SY_SZ_S18_S19_S1A_S12_S13_S15_S14_S1B_S1C_NSS_IJLi18EEEENSS_IJLi19ELi20EEEENSS_IJLi21EEEEEEENSS_IJLi18ELi19ELi20ELi21EEEElEENSB_INS5_IJSQ_SO_SO_SQ_SG_SG_S26_S28_EEENS5_IJST_SU_SV_SX_SW_SY_S18_SZ_EEENS5_IJS1I_SW_SX_S1J_S18_NSS_IJLi8EEEENSS_IJLi9ELi10EEEES12_EEENSS_IJLi8ELi9ELi10ELi11EEEElEENS5_IJNSB_INS5_IJSK_SO_SO_NSP_INS5_IJiS27_NS23_IiLi64EEEEEELb0EEES2S_EEENS5_IJST_SU_SV_SW_SX_EEENS5_IJS1I_SW_SX_NSS_IJLi5ELi6ELi7EEEENSS_IJLi8ELi9ELi10EEEEEEENSS_IJLi5ELi6ELi7ELi8ELi9ELi10EEEElEEEEES2Z_NS_31BlockToCTileMap_M00_N00_M01_N01ILi128ELi128ES1R_Lb0EEENS1_30ComputePtrOffsetOfStridedBatchILi1ELi1ELi1EvEELb1ELb0EEEvPKT0_S37_T1_PT2_T3_T4_T5_iT6_T7_T8_T9_T10_T11_,@function
_ZN2ck16tensor_operation6device12_GLOBAL__N_137kernel_grouped_conv_fwd_dl_multiple_dINS_32GridwiseGemmDlMultipleD_km_kn_mnILi256EDF16_fNS_5TupleIJDF16_EEEDF16_NS0_12element_wise11PassThroughES8_NS7_7AddReluELNS_25InMemoryDataOperationEnumE0ENS_16TensorDescriptorINS5_IJNS_5EmbedINS5_IJiiiEEESD_Lb0EEENS_11PassThroughIiEENS_3PadIiiiLb0EEESG_SG_NSC_INS5_IJiiEEESJ_Lb0EEESG_NS_23Merge_v2_magic_divisionISJ_EESM_NS_8RightPadIiiLb0EEESO_NS_7UnMergeISJ_Lb0EEESG_EEENS5_IJNS_8SequenceIJLi0EEEENSS_IJLi1EEEENSS_IJLi2EEEENSS_IJLi3EEEENSS_IJLi4EEEENSS_IJLi5EEEENSS_IJLi6EEEENSS_IJLi7ELi9EEEENSS_IJLi8ELi10EEEENSS_IJLi11EEEENSS_IJLi12EEEENSS_IJLi14EEEENSS_IJLi13EEEEEEENS5_IJNSS_IJLi1ELi2ELi3EEEESX_SY_SZ_NSS_IJLi7EEEENSS_IJLi8ELi9EEEENSS_IJLi10EEEES12_S13_S15_S14_NSS_IJLi15ELi16EEEENSS_IJLi17EEEEEEENSS_IJLi15ELi17ELi16EEEElEENSB_INS5_IJSQ_SO_SO_SQ_SG_EEENS5_IJST_SU_SV_SX_SW_EEENS5_IJNSS_IJLi1ELi2EEEESW_SX_NSS_IJLi5ELi6EEEES18_EEENSS_IJLi5ELi7ELi6EEEElEENSB_INS5_IJSK_SO_SO_EEENS5_IJST_SU_SV_EEENS5_IJS1I_SW_SX_EEENSS_IJLi3ELi4EEEElEELi128ELi128ELi16ELi2ELi4ELi4ELi1ENSS_IJLi8ELi2EEEES1S_NSS_IJLi8ELi1ELi1ELi2EEEENSS_IJLi2ELi1ELi128ELi1EEEENSS_IJLi1ELi2ELi0ELi3EEEES1V_NSS_IJLi4ELi1ELi1ELi2EEEES1V_NSS_IJLi1ELi1ELi1ELi2EEEES1T_S1U_S1V_S1V_S1W_S1V_S1X_NSS_IJLi0ELi1ELi2ELi3ELi4ELi5EEEELi5ELi4EEEDF16_NS5_IJPKDF16_EEEDF16_S8_S8_S9_NSB_INS5_IJSE_SG_SI_SG_SG_SK_SG_SM_SM_SO_SO_SQ_SG_SG_NSP_INS5_IJiNS_17integral_constantIiLi128EEEEEELb0EEENSF_INS23_IiLi2EEEEEEEENS5_IJST_SU_SV_SW_SX_SY_SZ_S10_S11_S12_S13_S14_S15_NSS_IJLi15EEEES1C_NSS_IJLi16EEEEEEENS5_IJS17_SX_SY_SZ_S18_S19_S1A_S12_S13_S15_S14_S1B_S1C_NSS_IJLi18EEEENSS_IJLi19ELi20EEEENSS_IJLi21EEEEEEENSS_IJLi18ELi19ELi20ELi21EEEElEENSB_INS5_IJSQ_SO_SO_SQ_SG_SG_S26_S28_EEENS5_IJST_SU_SV_SX_SW_SY_S18_SZ_EEENS5_IJS1I_SW_SX_S1J_S18_NSS_IJLi8EEEENSS_IJLi9ELi10EEEES12_EEENSS_IJLi8ELi9ELi10ELi11EEEElEENS5_IJNSB_INS5_IJSK_SO_SO_NSP_INS5_IJiS27_NS23_IiLi64EEEEEELb0EEES2S_EEENS5_IJST_SU_SV_SW_SX_EEENS5_IJS1I_SW_SX_NSS_IJLi5ELi6ELi7EEEENSS_IJLi8ELi9ELi10EEEEEEENSS_IJLi5ELi6ELi7ELi8ELi9ELi10EEEElEEEEES2Z_NS_31BlockToCTileMap_M00_N00_M01_N01ILi128ELi128ES1R_Lb0EEENS1_30ComputePtrOffsetOfStridedBatchILi1ELi1ELi1EvEELb1ELb0EEEvPKT0_S37_T1_PT2_T3_T4_T5_iT6_T7_T8_T9_T10_T11_: ; @_ZN2ck16tensor_operation6device12_GLOBAL__N_137kernel_grouped_conv_fwd_dl_multiple_dINS_32GridwiseGemmDlMultipleD_km_kn_mnILi256EDF16_fNS_5TupleIJDF16_EEEDF16_NS0_12element_wise11PassThroughES8_NS7_7AddReluELNS_25InMemoryDataOperationEnumE0ENS_16TensorDescriptorINS5_IJNS_5EmbedINS5_IJiiiEEESD_Lb0EEENS_11PassThroughIiEENS_3PadIiiiLb0EEESG_SG_NSC_INS5_IJiiEEESJ_Lb0EEESG_NS_23Merge_v2_magic_divisionISJ_EESM_NS_8RightPadIiiLb0EEESO_NS_7UnMergeISJ_Lb0EEESG_EEENS5_IJNS_8SequenceIJLi0EEEENSS_IJLi1EEEENSS_IJLi2EEEENSS_IJLi3EEEENSS_IJLi4EEEENSS_IJLi5EEEENSS_IJLi6EEEENSS_IJLi7ELi9EEEENSS_IJLi8ELi10EEEENSS_IJLi11EEEENSS_IJLi12EEEENSS_IJLi14EEEENSS_IJLi13EEEEEEENS5_IJNSS_IJLi1ELi2ELi3EEEESX_SY_SZ_NSS_IJLi7EEEENSS_IJLi8ELi9EEEENSS_IJLi10EEEES12_S13_S15_S14_NSS_IJLi15ELi16EEEENSS_IJLi17EEEEEEENSS_IJLi15ELi17ELi16EEEElEENSB_INS5_IJSQ_SO_SO_SQ_SG_EEENS5_IJST_SU_SV_SX_SW_EEENS5_IJNSS_IJLi1ELi2EEEESW_SX_NSS_IJLi5ELi6EEEES18_EEENSS_IJLi5ELi7ELi6EEEElEENSB_INS5_IJSK_SO_SO_EEENS5_IJST_SU_SV_EEENS5_IJS1I_SW_SX_EEENSS_IJLi3ELi4EEEElEELi128ELi128ELi16ELi2ELi4ELi4ELi1ENSS_IJLi8ELi2EEEES1S_NSS_IJLi8ELi1ELi1ELi2EEEENSS_IJLi2ELi1ELi128ELi1EEEENSS_IJLi1ELi2ELi0ELi3EEEES1V_NSS_IJLi4ELi1ELi1ELi2EEEES1V_NSS_IJLi1ELi1ELi1ELi2EEEES1T_S1U_S1V_S1V_S1W_S1V_S1X_NSS_IJLi0ELi1ELi2ELi3ELi4ELi5EEEELi5ELi4EEEDF16_NS5_IJPKDF16_EEEDF16_S8_S8_S9_NSB_INS5_IJSE_SG_SI_SG_SG_SK_SG_SM_SM_SO_SO_SQ_SG_SG_NSP_INS5_IJiNS_17integral_constantIiLi128EEEEEELb0EEENSF_INS23_IiLi2EEEEEEEENS5_IJST_SU_SV_SW_SX_SY_SZ_S10_S11_S12_S13_S14_S15_NSS_IJLi15EEEES1C_NSS_IJLi16EEEEEEENS5_IJS17_SX_SY_SZ_S18_S19_S1A_S12_S13_S15_S14_S1B_S1C_NSS_IJLi18EEEENSS_IJLi19ELi20EEEENSS_IJLi21EEEEEEENSS_IJLi18ELi19ELi20ELi21EEEElEENSB_INS5_IJSQ_SO_SO_SQ_SG_SG_S26_S28_EEENS5_IJST_SU_SV_SX_SW_SY_S18_SZ_EEENS5_IJS1I_SW_SX_S1J_S18_NSS_IJLi8EEEENSS_IJLi9ELi10EEEES12_EEENSS_IJLi8ELi9ELi10ELi11EEEElEENS5_IJNSB_INS5_IJSK_SO_SO_NSP_INS5_IJiS27_NS23_IiLi64EEEEEELb0EEES2S_EEENS5_IJST_SU_SV_SW_SX_EEENS5_IJS1I_SW_SX_NSS_IJLi5ELi6ELi7EEEENSS_IJLi8ELi9ELi10EEEEEEENSS_IJLi5ELi6ELi7ELi8ELi9ELi10EEEElEEEEES2Z_NS_31BlockToCTileMap_M00_N00_M01_N01ILi128ELi128ES1R_Lb0EEENS1_30ComputePtrOffsetOfStridedBatchILi1ELi1ELi1EvEELb1ELb0EEEvPKT0_S37_T1_PT2_T3_T4_T5_iT6_T7_T8_T9_T10_T11_
; %bb.0:
	s_load_dword s4, s[0:1], 0x24
	s_load_dwordx4 s[28:31], s[0:1], 0x0
	s_load_dwordx2 s[42:43], s[0:1], 0x18
	s_load_dwordx8 s[12:19], s[0:1], 0x34
	s_load_dword s6, s[0:1], 0x288
	s_load_dword s46, s[0:1], 0x48
	s_load_dwordx2 s[44:45], s[0:1], 0x60
	s_load_dword s3, s[0:1], 0x70
	s_load_dword s34, s[0:1], 0x78
	s_waitcnt lgkmcnt(0)
	s_load_dword s19, s[0:1], 0x80
	s_load_dword s47, s[0:1], 0x8c
	;; [unrolled: 1-line block ×4, first 2 shown]
	v_lshrrev_b32_e32 v20, 1, v0
	v_lshrrev_b32_e32 v27, 5, v0
	s_abs_i32 s5, s4
	v_cvt_f32_u32_e32 v1, s5
	s_sub_i32 s7, 0, s5
	s_xor_b32 s4, s6, s4
	s_abs_i32 s6, s6
	v_rcp_iflag_f32_e32 v1, v1
	s_ashr_i32 s4, s4, 31
	v_lshlrev_b32_e32 v29, 1, v0
	v_lshlrev_b32_e32 v28, 6, v27
	v_mul_f32_e32 v1, 0x4f7ffffe, v1
	v_cvt_u32_f32_e32 v1, v1
	v_and_b32_e32 v30, 0x1f8, v29
	v_sub_u32_e32 v28, v30, v28
	s_mov_b32 s54, 0
	v_readfirstlane_b32 s8, v1
	s_mul_i32 s7, s7, s8
	s_mul_hi_u32 s7, s8, s7
	s_add_i32 s8, s8, s7
	s_mul_hi_u32 s7, s6, s8
	s_mul_i32 s8, s7, s5
	s_sub_i32 s6, s6, s8
	s_add_i32 s8, s7, 1
	s_sub_i32 s9, s6, s5
	s_cmp_ge_u32 s6, s5
	s_cselect_b32 s7, s8, s7
	s_cselect_b32 s6, s9, s6
	s_add_i32 s8, s7, 1
	s_cmp_ge_u32 s6, s5
	s_cselect_b32 s5, s8, s7
	s_xor_b32 s5, s5, s4
	s_sub_i32 s33, s5, s4
	s_abs_i32 s50, s33
	v_cvt_f32_u32_e32 v1, s50
	s_load_dword s55, s[0:1], 0x120
	s_load_dword s35, s[0:1], 0x148
	s_load_dwordx2 s[40:41], s[0:1], 0x158
	s_load_dword s15, s[0:1], 0x164
	s_load_dword s17, s[0:1], 0x170
	s_load_dwordx8 s[4:11], s[0:1], 0x224
	s_waitcnt lgkmcnt(0)
	s_xor_b32 s5, s2, s33
	s_sub_i32 s33, 0, s50
	v_rcp_iflag_f32_e32 v1, v1
	s_abs_i32 s7, s2
	s_ashr_i32 s5, s5, 31
	s_load_dwordx4 s[36:39], s[0:1], 0x248
	s_load_dwordx8 s[20:27], s[0:1], 0x260
	v_mul_f32_e32 v1, 0x4f7ffffe, v1
	v_cvt_u32_f32_e32 v1, v1
	s_mul_hi_u32 s11, s11, s2
	v_mov_b32_e32 v40, 0
	v_mov_b32_e32 v37, 0
	v_readfirstlane_b32 s51, v1
	s_mul_i32 s33, s33, s51
	s_mul_hi_u32 s33, s51, s33
	s_add_i32 s51, s51, s33
	s_mul_hi_u32 s33, s7, s51
	s_mul_i32 s51, s33, s50
	s_sub_i32 s7, s7, s51
	s_add_i32 s51, s33, 1
	s_sub_i32 s52, s7, s50
	s_cmp_ge_u32 s7, s50
	s_cselect_b32 s33, s51, s33
	s_cselect_b32 s7, s52, s7
	s_add_i32 s51, s33, 1
	s_cmp_ge_u32 s7, s50
	s_cselect_b32 s7, s51, s33
	s_xor_b32 s7, s7, s5
	s_sub_i32 s50, s7, s5
	s_ashr_i32 s51, s50, 31
	s_waitcnt lgkmcnt(0)
	s_mul_i32 s5, s20, s51
	s_mul_hi_u32 s7, s20, s50
	s_add_i32 s5, s7, s5
	s_mul_i32 s7, s21, s50
	s_add_i32 s21, s5, s7
	s_mul_i32 s5, s22, s51
	s_mul_hi_u32 s7, s22, s50
	s_mul_i32 s20, s20, s50
	s_add_i32 s5, s7, s5
	s_mul_i32 s7, s23, s50
	s_add_i32 s23, s5, s7
	s_lshl_b64 s[20:21], s[20:21], 1
	s_mul_i32 s22, s22, s50
	s_add_u32 s20, s28, s20
	s_addc_u32 s5, s29, s21
	s_lshl_b64 s[22:23], s[22:23], 1
	s_add_u32 s28, s30, s22
	s_addc_u32 s7, s31, s23
	s_add_i32 s11, s2, s11
	s_lshr_b32 s11, s11, s39
	s_mul_hi_u32 s10, s11, s10
	s_add_i32 s10, s11, s10
	s_lshr_b32 s10, s10, s38
	s_mul_hi_u32 s9, s10, s9
	s_load_dword s21, s[0:1], 0x204
	s_load_dword s22, s[0:1], 0x214
	s_load_dwordx4 s[56:59], s[0:1], 0x220
	s_add_i32 s9, s10, s9
	s_lshr_b32 s9, s9, s37
	s_mul_i32 s6, s11, s6
	s_sub_i32 s33, s2, s6
	s_mul_hi_u32 s2, s9, s8
	s_add_i32 s2, s9, s2
	s_lshr_b32 s2, s2, s36
	s_mul_i32 s4, s9, s4
	s_waitcnt lgkmcnt(0)
	s_mul_i32 s2, s2, s56
	s_sub_i32 s4, s10, s4
	s_mul_i32 s10, s10, s58
	s_sub_i32 s2, s9, s2
	v_lshlrev_b32_e32 v1, 3, v0
	s_sub_i32 s6, s11, s10
	s_mul_i32 s4, s4, s22
	s_load_dwordx2 s[36:37], s[0:1], 0x1e8
	s_mul_i32 s2, s2, s21
	v_and_b32_e32 v21, 8, v1
	s_add_i32 s33, s33, s4
	s_waitcnt lgkmcnt(0)
	s_add_i32 s37, s6, s2
	s_load_dword s57, s[0:1], 0xc4
	s_load_dword s56, s[0:1], 0xd0
	;; [unrolled: 1-line block ×7, first 2 shown]
	s_waitcnt lgkmcnt(0)
	v_mul_lo_u32 v23, s57, v21
	v_mul_hi_u32 v1, v23, s48
	v_add_u32_e32 v1, v23, v1
	v_lshrrev_b32_e32 v6, s49, v1
	v_lshl_or_b32 v22, s37, 7, v20
	v_mul_lo_u32 v1, v6, s47
	v_sub_u32_e32 v7, v23, v1
	v_mul_hi_u32 v1, v22, s34
	v_add_u32_e32 v1, v22, v1
	v_lshrrev_b32_e32 v1, s19, v1
	v_mul_lo_u32 v2, v1, s3
	v_sub_u32_e32 v3, v22, v2
	v_mul_lo_u32 v2, v6, s44
	v_mad_u64_u32 v[18:19], s[2:3], v3, s45, v[2:3]
	v_subrev_u32_e32 v2, s46, v18
	v_mul_lo_u32 v1, v1, s12
	v_mul_lo_u32 v2, v2, s13
	v_mul_lo_u32 v3, v7, s14
	v_add3_u32 v8, v1, v3, v2
	s_lshl_b32 s58, s57, 2
	s_lshl_b32 s22, s4, 1
	s_and_b32 s21, s5, 0xffff
	s_mov_b32 s23, 0x20000
	v_lshlrev_b32_e32 v1, 1, v8
	v_add_u32_e32 v88, s58, v23
	buffer_load_dwordx4 v[2:5], v1, s[20:23], 0 offen
	v_mul_hi_u32 v1, v88, s48
	v_add_u32_e32 v1, v88, v1
	v_lshrrev_b32_e32 v83, s49, v1
	v_mul_lo_u32 v1, v83, s47
	v_sub_u32_e32 v1, v88, v1
	v_sub_u32_e32 v6, v83, v6
	;; [unrolled: 1-line block ×3, first 2 shown]
	v_mul_lo_u32 v25, v6, s44
	v_mul_lo_u32 v6, v25, s13
	;; [unrolled: 1-line block ×3, first 2 shown]
	v_lshl_or_b32 v19, s33, 7, v20
	v_add3_u32 v84, v7, v6, v8
	v_mul_lo_u32 v24, s55, v21
	v_lshlrev_b32_e32 v6, 1, v84
	v_mul_lo_u32 v26, v19, s6
	buffer_load_dwordx4 v[6:9], v6, s[20:23], 0 offen
	v_add_u32_e32 v14, v26, v24
	s_and_b32 s29, s7, 0xffff
	s_lshl_b32 s10, s35, 1
	s_mov_b32 s8, s28
	s_mov_b32 s9, s29
	;; [unrolled: 1-line block ×3, first 2 shown]
	v_lshlrev_b32_e32 v10, 1, v14
	buffer_load_dwordx4 v[10:13], v10, s[8:11], 0 offen
	s_lshl_b32 s59, s55, 2
	v_add_lshl_u32 v14, v14, s59, 1
	buffer_load_dwordx4 v[14:17], v14, s[8:11], 0 offen
	s_load_dword s4, s[0:1], 0xa8
	s_sub_i32 s16, s16, s18
	v_cmp_gt_i32_e64 s[2:3], s53, v23
	v_cmp_gt_i32_e64 s[6:7], s16, v18
	s_and_b64 s[2:3], s[6:7], s[2:3]
	s_waitcnt lgkmcnt(0)
	v_cmp_gt_i32_e32 vcc, s4, v22
	v_cmp_le_i32_e64 s[4:5], s46, v18
	v_lshlrev_b32_e32 v0, 2, v0
	s_and_b64 s[2:3], s[2:3], s[4:5]
	v_and_or_b32 v81, v0, 4, v28
	v_lshlrev_b32_e32 v0, 3, v27
	s_and_b64 s[2:3], vcc, s[2:3]
	v_add_u32_e32 v107, v18, v25
	v_and_or_b32 v85, v29, 4, v0
	v_cmp_gt_i32_e64 s[6:7], s16, v107
	v_cmp_le_i32_e64 s[4:5], s46, v107
	s_load_dwordx2 s[38:39], s[0:1], 0x198
	s_load_dwordx2 s[34:35], s[0:1], 0x1a8
	s_load_dword s12, s[0:1], 0x1b4
	s_load_dword s19, s[0:1], 0x1c0
	s_mov_b32 s11, s13
	s_mov_b32 s45, s14
	;; [unrolled: 1-line block ×3, first 2 shown]
	v_lshlrev_b32_e32 v86, 2, v85
	v_lshlrev_b32_e32 v87, 2, v81
	s_lshl_b32 s18, s55, 5
	v_lshlrev_b32_e32 v95, 1, v26
	s_waitcnt lgkmcnt(0)
	s_lshl_b32 s39, s55, 6
	v_mov_b32_e32 v36, 0
	v_mov_b32_e32 v39, 0
	;; [unrolled: 1-line block ×27, first 2 shown]
	s_waitcnt vmcnt(3)
	v_cndmask_b32_e64 v0, 0, v5, s[2:3]
	v_cndmask_b32_e64 v4, 0, v4, s[2:3]
	;; [unrolled: 1-line block ×4, first 2 shown]
	v_cmp_gt_i32_e64 s[2:3], s53, v88
	s_and_b64 s[2:3], s[6:7], s[2:3]
	s_and_b64 s[2:3], s[2:3], s[4:5]
	s_and_b64 s[2:3], vcc, s[2:3]
	v_cmp_gt_i32_e64 s[4:5], s52, v24
	v_mov_b32_e32 v59, 0
	v_mov_b32_e32 v58, 0
	v_mov_b32_e32 v61, 0
	v_mov_b32_e32 v60, 0
	v_mov_b32_e32 v63, 0
	v_mov_b32_e32 v62, 0
	v_mov_b32_e32 v69, 0
	s_waitcnt vmcnt(2)
	v_cndmask_b32_e64 v5, 0, v9, s[2:3]
	v_cndmask_b32_e64 v8, 0, v8, s[2:3]
	v_cndmask_b32_e64 v7, 0, v7, s[2:3]
	v_cndmask_b32_e64 v6, 0, v6, s[2:3]
	v_cmp_gt_i32_e64 s[2:3], s30, v19
	s_and_b64 s[4:5], s[4:5], s[2:3]
	s_mov_b32 s30, s10
	s_sub_i32 s10, s56, 32
	s_waitcnt vmcnt(1)
	v_cndmask_b32_e64 v9, 0, v13, s[4:5]
	v_add_u32_e32 v13, s59, v24
	v_cndmask_b32_e64 v12, 0, v12, s[4:5]
	v_cndmask_b32_e64 v11, 0, v11, s[4:5]
	;; [unrolled: 1-line block ×3, first 2 shown]
	v_cmp_gt_i32_e64 s[4:5], s52, v13
	s_and_b64 s[4:5], s[4:5], s[2:3]
	s_sub_i32 s56, 0, s47
	s_waitcnt vmcnt(0)
	v_cndmask_b32_e64 v13, 0, v17, s[4:5]
	v_lshlrev_b32_e32 v17, 2, v20
	v_lshl_or_b32 v89, v21, 9, v17
	v_cndmask_b32_e64 v16, 0, v16, s[4:5]
	v_cndmask_b32_e64 v15, 0, v15, s[4:5]
	;; [unrolled: 1-line block ×3, first 2 shown]
	ds_write2st64_b32 v89, v2, v3 offset1:2
	ds_write2st64_b32 v89, v4, v0 offset0:4 offset1:6
	ds_write2st64_b32 v89, v6, v7 offset0:8 offset1:10
	;; [unrolled: 1-line block ×7, first 2 shown]
	v_or_b32_e32 v0, 36, v21
	v_or_b32_e32 v2, 32, v21
	;; [unrolled: 1-line block ×4, first 2 shown]
	s_mul_i32 s4, s57, 12
	v_mul_lo_u32 v90, s55, v0
	v_mul_lo_u32 v91, s55, v2
	;; [unrolled: 1-line block ×8, first 2 shown]
	v_lshlrev_b32_e32 v94, 1, v90
	v_lshlrev_b32_e32 v96, 1, v91
	;; [unrolled: 1-line block ×4, first 2 shown]
	s_lshl_b32 s55, s57, 5
	s_add_i32 s57, s58, s4
	v_mov_b32_e32 v103, v102
	v_mov_b32_e32 v104, v101
	;; [unrolled: 1-line block ×4, first 2 shown]
	s_mov_b32 s58, 0
	v_mov_b32_e32 v24, 0
	v_mov_b32_e32 v21, 0
	;; [unrolled: 1-line block ×28, first 2 shown]
	s_mov_b32 s59, 0
.LBB2_1:                                ; =>This Inner Loop Header: Depth=1
	v_mul_hi_u32 v0, s48, v106
	v_add_u32_e32 v108, s54, v99
	v_add_u32_e32 v0, v108, v0
	v_lshrrev_b32_e32 v0, s49, v0
	v_mul_lo_u32 v2, s56, v0
	v_sub_u32_e32 v3, v0, v83
	v_sub_u32_e32 v1, v2, v1
	v_mul_lo_u32 v109, v3, s44
	v_add_u32_e32 v1, v108, v1
	v_mul_lo_u32 v1, v1, s45
	v_mul_lo_u32 v3, v109, s11
	v_add3_u32 v1, v3, v84, v1
	v_mul_hi_u32 v3, s48, v105
	v_add_u32_e32 v84, s54, v100
	v_add_u32_e32 v3, v84, v3
	v_lshrrev_b32_e32 v110, s49, v3
	v_sub_u32_e32 v0, v110, v0
	v_add_u32_e32 v2, v108, v2
	v_mad_u64_u32 v[82:83], s[4:5], s56, v110, v[84:85]
	v_mul_lo_u32 v112, v0, s44
	v_sub_u32_e32 v0, v82, v2
	v_mul_lo_u32 v0, v0, s14
	v_mul_lo_u32 v2, v112, s13
	v_add3_u32 v111, v1, v2, v0
	v_lshlrev_b32_e32 v0, 1, v1
	v_add_u32_e32 v1, v98, v95
	v_add_u32_e32 v2, v97, v95
	v_lshlrev_b32_e32 v3, 1, v111
	buffer_load_dwordx4 v[12:15], v1, s[28:31], 0 offen
	buffer_load_dwordx4 v[8:11], v2, s[28:31], 0 offen
	;; [unrolled: 1-line block ×3, first 2 shown]
	s_nop 0
	buffer_load_dwordx4 v[0:3], v3, s[20:23], 0 offen
	s_waitcnt lgkmcnt(0)
	s_barrier
	ds_read_b128 v[114:117], v86
	ds_read_b128 v[118:121], v87 offset:16384
	ds_read_b128 v[122:125], v87 offset:16640
	;; [unrolled: 1-line block ×3, first 2 shown]
	v_mul_hi_u32 v83, s48, v104
	v_add_u32_e32 v80, s54, v101
	s_waitcnt lgkmcnt(2)
	v_dot2c_f32_f16_e32 v78, v114, v118
	v_dot2c_f32_f16_e32 v79, v114, v119
	v_dot2c_f32_f16_e32 v76, v114, v120
	v_dot2c_f32_f16_e32 v77, v114, v121
	v_dot2c_f32_f16_e32 v66, v115, v118
	v_dot2c_f32_f16_e32 v67, v115, v119
	v_dot2c_f32_f16_e32 v64, v115, v120
	v_dot2c_f32_f16_e32 v65, v115, v121
	v_dot2c_f32_f16_e32 v62, v116, v118
	v_dot2c_f32_f16_e32 v63, v116, v119
	v_dot2c_f32_f16_e32 v60, v116, v120
	v_dot2c_f32_f16_e32 v61, v116, v121
	v_dot2c_f32_f16_e32 v50, v117, v118
	v_dot2c_f32_f16_e32 v51, v117, v119
	v_dot2c_f32_f16_e32 v48, v117, v120
	v_dot2c_f32_f16_e32 v49, v117, v121
	s_waitcnt lgkmcnt(1)
	v_dot2c_f32_f16_e32 v74, v114, v122
	v_dot2c_f32_f16_e32 v75, v114, v123
	v_dot2c_f32_f16_e32 v72, v114, v124
	v_dot2c_f32_f16_e32 v73, v114, v125
	v_dot2c_f32_f16_e32 v70, v115, v122
	v_dot2c_f32_f16_e32 v71, v115, v123
	v_dot2c_f32_f16_e32 v68, v115, v124
	v_dot2c_f32_f16_e32 v69, v115, v125
	v_dot2c_f32_f16_e32 v58, v116, v122
	v_dot2c_f32_f16_e32 v59, v116, v123
	v_dot2c_f32_f16_e32 v56, v116, v124
	v_dot2c_f32_f16_e32 v57, v116, v125
	v_dot2c_f32_f16_e32 v54, v117, v122
	v_dot2c_f32_f16_e32 v55, v117, v123
	v_dot2c_f32_f16_e32 v52, v117, v124
	v_dot2c_f32_f16_e32 v53, v117, v125
	s_waitcnt lgkmcnt(0)
	v_dot2c_f32_f16_e32 v18, v126, v118
	v_dot2c_f32_f16_e32 v19, v126, v119
	v_dot2c_f32_f16_e32 v16, v126, v120
	v_dot2c_f32_f16_e32 v17, v126, v121
	v_dot2c_f32_f16_e32 v30, v127, v118
	v_dot2c_f32_f16_e32 v31, v127, v119
	v_dot2c_f32_f16_e32 v28, v127, v120
	v_dot2c_f32_f16_e32 v29, v127, v121
	v_dot2c_f32_f16_e32 v34, v128, v118
	v_dot2c_f32_f16_e32 v35, v128, v119
	v_dot2c_f32_f16_e32 v32, v128, v120
	v_dot2c_f32_f16_e32 v33, v128, v121
	v_dot2c_f32_f16_e32 v40, v129, v118
	v_dot2c_f32_f16_e32 v41, v129, v119
	v_dot2c_f32_f16_e32 v46, v129, v120
	v_dot2c_f32_f16_e32 v47, v129, v121
	v_dot2c_f32_f16_e32 v22, v126, v122
	v_dot2c_f32_f16_e32 v23, v126, v123
	;; [unrolled: 1-line block ×16, first 2 shown]
	ds_read_b128 v[114:117], v86 offset:512
	ds_read_b128 v[118:121], v87 offset:16896
	;; [unrolled: 1-line block ×4, first 2 shown]
	v_add_u32_e32 v83, v80, v83
	v_lshrrev_b32_e32 v113, s49, v83
	s_waitcnt lgkmcnt(2)
	v_dot2c_f32_f16_e32 v78, v114, v118
	v_dot2c_f32_f16_e32 v79, v114, v119
	v_dot2c_f32_f16_e32 v76, v114, v120
	v_dot2c_f32_f16_e32 v77, v114, v121
	v_dot2c_f32_f16_e32 v66, v115, v118
	v_dot2c_f32_f16_e32 v67, v115, v119
	v_dot2c_f32_f16_e32 v64, v115, v120
	v_dot2c_f32_f16_e32 v65, v115, v121
	v_dot2c_f32_f16_e32 v62, v116, v118
	v_dot2c_f32_f16_e32 v63, v116, v119
	v_dot2c_f32_f16_e32 v60, v116, v120
	v_dot2c_f32_f16_e32 v61, v116, v121
	v_dot2c_f32_f16_e32 v50, v117, v118
	v_dot2c_f32_f16_e32 v51, v117, v119
	v_dot2c_f32_f16_e32 v48, v117, v120
	v_dot2c_f32_f16_e32 v49, v117, v121
	s_waitcnt lgkmcnt(1)
	v_dot2c_f32_f16_e32 v74, v114, v122
	v_dot2c_f32_f16_e32 v75, v114, v123
	v_dot2c_f32_f16_e32 v72, v114, v124
	v_dot2c_f32_f16_e32 v73, v114, v125
	v_dot2c_f32_f16_e32 v70, v115, v122
	v_dot2c_f32_f16_e32 v71, v115, v123
	v_dot2c_f32_f16_e32 v68, v115, v124
	v_dot2c_f32_f16_e32 v69, v115, v125
	v_dot2c_f32_f16_e32 v58, v116, v122
	v_dot2c_f32_f16_e32 v59, v116, v123
	v_dot2c_f32_f16_e32 v56, v116, v124
	v_dot2c_f32_f16_e32 v57, v116, v125
	v_dot2c_f32_f16_e32 v54, v117, v122
	v_dot2c_f32_f16_e32 v55, v117, v123
	v_dot2c_f32_f16_e32 v52, v117, v124
	v_dot2c_f32_f16_e32 v53, v117, v125
	;; [unrolled: 17-line block ×3, first 2 shown]
	v_dot2c_f32_f16_e32 v22, v126, v122
	v_dot2c_f32_f16_e32 v23, v126, v123
	v_dot2c_f32_f16_e32 v20, v126, v124
	v_dot2c_f32_f16_e32 v21, v126, v125
	v_dot2c_f32_f16_e32 v26, v127, v122
	v_dot2c_f32_f16_e32 v27, v127, v123
	v_dot2c_f32_f16_e32 v24, v127, v124
	v_dot2c_f32_f16_e32 v25, v127, v125
	v_dot2c_f32_f16_e32 v38, v128, v122
	v_dot2c_f32_f16_e32 v39, v128, v123
	v_dot2c_f32_f16_e32 v36, v128, v124
	v_dot2c_f32_f16_e32 v37, v128, v125
	v_dot2c_f32_f16_e32 v44, v129, v122
	v_dot2c_f32_f16_e32 v45, v129, v123
	v_dot2c_f32_f16_e32 v42, v129, v124
	v_dot2c_f32_f16_e32 v43, v129, v125
	ds_read_b128 v[114:117], v86 offset:1024
	ds_read_b128 v[118:121], v87 offset:17408
	ds_read_b128 v[122:125], v87 offset:17664
	ds_read_b128 v[126:129], v86 offset:1280
	v_mul_hi_u32 v83, s48, v103
	v_add_u32_e32 v107, v109, v107
	s_waitcnt lgkmcnt(2)
	v_dot2c_f32_f16_e32 v78, v114, v118
	v_dot2c_f32_f16_e32 v79, v114, v119
	v_dot2c_f32_f16_e32 v76, v114, v120
	v_dot2c_f32_f16_e32 v77, v114, v121
	v_dot2c_f32_f16_e32 v66, v115, v118
	v_dot2c_f32_f16_e32 v67, v115, v119
	v_dot2c_f32_f16_e32 v64, v115, v120
	v_dot2c_f32_f16_e32 v65, v115, v121
	v_dot2c_f32_f16_e32 v62, v116, v118
	v_dot2c_f32_f16_e32 v63, v116, v119
	v_dot2c_f32_f16_e32 v60, v116, v120
	v_dot2c_f32_f16_e32 v61, v116, v121
	v_dot2c_f32_f16_e32 v50, v117, v118
	v_dot2c_f32_f16_e32 v51, v117, v119
	v_dot2c_f32_f16_e32 v48, v117, v120
	v_dot2c_f32_f16_e32 v49, v117, v121
	s_waitcnt lgkmcnt(1)
	v_dot2c_f32_f16_e32 v74, v114, v122
	v_dot2c_f32_f16_e32 v75, v114, v123
	v_dot2c_f32_f16_e32 v72, v114, v124
	v_dot2c_f32_f16_e32 v73, v114, v125
	v_dot2c_f32_f16_e32 v70, v115, v122
	v_dot2c_f32_f16_e32 v71, v115, v123
	v_dot2c_f32_f16_e32 v68, v115, v124
	v_dot2c_f32_f16_e32 v69, v115, v125
	v_dot2c_f32_f16_e32 v58, v116, v122
	v_dot2c_f32_f16_e32 v59, v116, v123
	v_dot2c_f32_f16_e32 v56, v116, v124
	v_dot2c_f32_f16_e32 v57, v116, v125
	v_dot2c_f32_f16_e32 v54, v117, v122
	v_dot2c_f32_f16_e32 v55, v117, v123
	v_dot2c_f32_f16_e32 v52, v117, v124
	v_dot2c_f32_f16_e32 v53, v117, v125
	;; [unrolled: 17-line block ×3, first 2 shown]
	v_dot2c_f32_f16_e32 v22, v126, v122
	v_dot2c_f32_f16_e32 v23, v126, v123
	;; [unrolled: 1-line block ×16, first 2 shown]
	ds_read_b128 v[114:117], v86 offset:1536
	ds_read_b128 v[118:121], v87 offset:17920
	;; [unrolled: 1-line block ×4, first 2 shown]
	v_cmp_gt_i32_e64 s[8:9], s16, v107
	v_cmp_le_i32_e64 s[6:7], s46, v107
	s_waitcnt lgkmcnt(2)
	v_dot2c_f32_f16_e32 v78, v114, v118
	v_dot2c_f32_f16_e32 v79, v114, v119
	v_dot2c_f32_f16_e32 v76, v114, v120
	v_dot2c_f32_f16_e32 v77, v114, v121
	v_dot2c_f32_f16_e32 v66, v115, v118
	v_dot2c_f32_f16_e32 v67, v115, v119
	v_dot2c_f32_f16_e32 v64, v115, v120
	v_dot2c_f32_f16_e32 v65, v115, v121
	v_dot2c_f32_f16_e32 v62, v116, v118
	v_dot2c_f32_f16_e32 v63, v116, v119
	v_dot2c_f32_f16_e32 v60, v116, v120
	v_dot2c_f32_f16_e32 v61, v116, v121
	v_dot2c_f32_f16_e32 v50, v117, v118
	v_dot2c_f32_f16_e32 v51, v117, v119
	v_dot2c_f32_f16_e32 v48, v117, v120
	v_dot2c_f32_f16_e32 v49, v117, v121
	s_waitcnt lgkmcnt(1)
	v_dot2c_f32_f16_e32 v74, v114, v122
	v_dot2c_f32_f16_e32 v75, v114, v123
	v_dot2c_f32_f16_e32 v72, v114, v124
	v_dot2c_f32_f16_e32 v73, v114, v125
	v_dot2c_f32_f16_e32 v70, v115, v122
	v_dot2c_f32_f16_e32 v71, v115, v123
	v_dot2c_f32_f16_e32 v68, v115, v124
	v_dot2c_f32_f16_e32 v69, v115, v125
	v_dot2c_f32_f16_e32 v58, v116, v122
	v_dot2c_f32_f16_e32 v59, v116, v123
	v_dot2c_f32_f16_e32 v56, v116, v124
	v_dot2c_f32_f16_e32 v57, v116, v125
	v_dot2c_f32_f16_e32 v54, v117, v122
	v_dot2c_f32_f16_e32 v55, v117, v123
	v_dot2c_f32_f16_e32 v52, v117, v124
	v_dot2c_f32_f16_e32 v53, v117, v125
	;; [unrolled: 17-line block ×3, first 2 shown]
	v_dot2c_f32_f16_e32 v22, v126, v122
	v_dot2c_f32_f16_e32 v23, v126, v123
	;; [unrolled: 1-line block ×16, first 2 shown]
	ds_read_b128 v[114:117], v86 offset:2048
	ds_read_b128 v[118:121], v87 offset:18432
	;; [unrolled: 1-line block ×4, first 2 shown]
	s_add_i32 s59, s59, 32
	v_add_u32_e32 v106, s55, v106
	s_waitcnt lgkmcnt(2)
	v_dot2c_f32_f16_e32 v78, v114, v118
	v_dot2c_f32_f16_e32 v79, v114, v119
	v_dot2c_f32_f16_e32 v76, v114, v120
	v_dot2c_f32_f16_e32 v77, v114, v121
	v_dot2c_f32_f16_e32 v66, v115, v118
	v_dot2c_f32_f16_e32 v67, v115, v119
	v_dot2c_f32_f16_e32 v64, v115, v120
	v_dot2c_f32_f16_e32 v65, v115, v121
	v_dot2c_f32_f16_e32 v62, v116, v118
	v_dot2c_f32_f16_e32 v63, v116, v119
	v_dot2c_f32_f16_e32 v60, v116, v120
	v_dot2c_f32_f16_e32 v61, v116, v121
	v_dot2c_f32_f16_e32 v50, v117, v118
	v_dot2c_f32_f16_e32 v51, v117, v119
	v_dot2c_f32_f16_e32 v48, v117, v120
	v_dot2c_f32_f16_e32 v49, v117, v121
	s_waitcnt lgkmcnt(1)
	v_dot2c_f32_f16_e32 v74, v114, v122
	v_dot2c_f32_f16_e32 v75, v114, v123
	v_dot2c_f32_f16_e32 v72, v114, v124
	v_dot2c_f32_f16_e32 v73, v114, v125
	v_dot2c_f32_f16_e32 v70, v115, v122
	v_dot2c_f32_f16_e32 v71, v115, v123
	v_dot2c_f32_f16_e32 v68, v115, v124
	v_dot2c_f32_f16_e32 v69, v115, v125
	v_dot2c_f32_f16_e32 v58, v116, v122
	v_dot2c_f32_f16_e32 v59, v116, v123
	v_dot2c_f32_f16_e32 v56, v116, v124
	v_dot2c_f32_f16_e32 v57, v116, v125
	v_dot2c_f32_f16_e32 v54, v117, v122
	v_dot2c_f32_f16_e32 v55, v117, v123
	v_dot2c_f32_f16_e32 v52, v117, v124
	v_dot2c_f32_f16_e32 v53, v117, v125
	;; [unrolled: 17-line block ×3, first 2 shown]
	v_dot2c_f32_f16_e32 v22, v126, v122
	v_dot2c_f32_f16_e32 v23, v126, v123
	;; [unrolled: 1-line block ×16, first 2 shown]
	ds_read_b128 v[114:117], v86 offset:2560
	ds_read_b128 v[118:121], v87 offset:18944
	;; [unrolled: 1-line block ×4, first 2 shown]
	v_add_u32_e32 v105, s55, v105
	v_add_u32_e32 v104, s55, v104
	s_waitcnt lgkmcnt(2)
	v_dot2c_f32_f16_e32 v78, v114, v118
	v_dot2c_f32_f16_e32 v79, v114, v119
	v_dot2c_f32_f16_e32 v76, v114, v120
	v_dot2c_f32_f16_e32 v77, v114, v121
	v_dot2c_f32_f16_e32 v66, v115, v118
	v_dot2c_f32_f16_e32 v67, v115, v119
	v_dot2c_f32_f16_e32 v64, v115, v120
	v_dot2c_f32_f16_e32 v65, v115, v121
	v_dot2c_f32_f16_e32 v62, v116, v118
	v_dot2c_f32_f16_e32 v63, v116, v119
	v_dot2c_f32_f16_e32 v60, v116, v120
	v_dot2c_f32_f16_e32 v61, v116, v121
	v_dot2c_f32_f16_e32 v50, v117, v118
	v_dot2c_f32_f16_e32 v51, v117, v119
	v_dot2c_f32_f16_e32 v48, v117, v120
	v_dot2c_f32_f16_e32 v49, v117, v121
	s_waitcnt lgkmcnt(1)
	v_dot2c_f32_f16_e32 v74, v114, v122
	v_dot2c_f32_f16_e32 v75, v114, v123
	v_dot2c_f32_f16_e32 v72, v114, v124
	v_dot2c_f32_f16_e32 v73, v114, v125
	v_dot2c_f32_f16_e32 v70, v115, v122
	v_dot2c_f32_f16_e32 v71, v115, v123
	v_dot2c_f32_f16_e32 v68, v115, v124
	v_dot2c_f32_f16_e32 v69, v115, v125
	v_dot2c_f32_f16_e32 v58, v116, v122
	v_dot2c_f32_f16_e32 v59, v116, v123
	v_dot2c_f32_f16_e32 v56, v116, v124
	v_dot2c_f32_f16_e32 v57, v116, v125
	v_dot2c_f32_f16_e32 v54, v117, v122
	v_dot2c_f32_f16_e32 v55, v117, v123
	v_dot2c_f32_f16_e32 v52, v117, v124
	v_dot2c_f32_f16_e32 v53, v117, v125
	s_waitcnt lgkmcnt(0)
	v_dot2c_f32_f16_e32 v18, v126, v118
	v_dot2c_f32_f16_e32 v19, v126, v119
	v_dot2c_f32_f16_e32 v16, v126, v120
	v_dot2c_f32_f16_e32 v17, v126, v121
	v_dot2c_f32_f16_e32 v30, v127, v118
	v_dot2c_f32_f16_e32 v31, v127, v119
	v_dot2c_f32_f16_e32 v28, v127, v120
	v_dot2c_f32_f16_e32 v29, v127, v121
	v_dot2c_f32_f16_e32 v34, v128, v118
	v_dot2c_f32_f16_e32 v35, v128, v119
	v_dot2c_f32_f16_e32 v32, v128, v120
	v_dot2c_f32_f16_e32 v33, v128, v121
	v_dot2c_f32_f16_e32 v40, v129, v118
	v_dot2c_f32_f16_e32 v41, v129, v119
	v_dot2c_f32_f16_e32 v46, v129, v120
	v_dot2c_f32_f16_e32 v47, v129, v121
	v_dot2c_f32_f16_e32 v22, v126, v122
	v_dot2c_f32_f16_e32 v23, v126, v123
	;; [unrolled: 1-line block ×16, first 2 shown]
	ds_read_b128 v[114:117], v86 offset:3072
	ds_read_b128 v[118:121], v87 offset:19456
	;; [unrolled: 1-line block ×4, first 2 shown]
	v_add_u32_e32 v103, s55, v103
	s_waitcnt lgkmcnt(2)
	v_dot2c_f32_f16_e32 v78, v114, v118
	v_dot2c_f32_f16_e32 v79, v114, v119
	v_dot2c_f32_f16_e32 v76, v114, v120
	v_dot2c_f32_f16_e32 v77, v114, v121
	v_dot2c_f32_f16_e32 v66, v115, v118
	v_dot2c_f32_f16_e32 v67, v115, v119
	v_dot2c_f32_f16_e32 v64, v115, v120
	v_dot2c_f32_f16_e32 v65, v115, v121
	v_dot2c_f32_f16_e32 v62, v116, v118
	v_dot2c_f32_f16_e32 v63, v116, v119
	v_dot2c_f32_f16_e32 v60, v116, v120
	v_dot2c_f32_f16_e32 v61, v116, v121
	v_dot2c_f32_f16_e32 v50, v117, v118
	v_dot2c_f32_f16_e32 v51, v117, v119
	v_dot2c_f32_f16_e32 v48, v117, v120
	v_dot2c_f32_f16_e32 v49, v117, v121
	s_waitcnt lgkmcnt(1)
	v_dot2c_f32_f16_e32 v74, v114, v122
	v_dot2c_f32_f16_e32 v75, v114, v123
	v_dot2c_f32_f16_e32 v72, v114, v124
	v_dot2c_f32_f16_e32 v73, v114, v125
	v_dot2c_f32_f16_e32 v70, v115, v122
	v_dot2c_f32_f16_e32 v71, v115, v123
	v_dot2c_f32_f16_e32 v68, v115, v124
	v_dot2c_f32_f16_e32 v69, v115, v125
	v_dot2c_f32_f16_e32 v58, v116, v122
	v_dot2c_f32_f16_e32 v59, v116, v123
	v_dot2c_f32_f16_e32 v56, v116, v124
	v_dot2c_f32_f16_e32 v57, v116, v125
	v_dot2c_f32_f16_e32 v54, v117, v122
	v_dot2c_f32_f16_e32 v55, v117, v123
	v_dot2c_f32_f16_e32 v52, v117, v124
	v_dot2c_f32_f16_e32 v53, v117, v125
	;; [unrolled: 17-line block ×3, first 2 shown]
	v_dot2c_f32_f16_e32 v22, v126, v122
	v_dot2c_f32_f16_e32 v23, v126, v123
	v_dot2c_f32_f16_e32 v20, v126, v124
	v_dot2c_f32_f16_e32 v21, v126, v125
	v_dot2c_f32_f16_e32 v26, v127, v122
	v_dot2c_f32_f16_e32 v27, v127, v123
	v_dot2c_f32_f16_e32 v24, v127, v124
	v_dot2c_f32_f16_e32 v25, v127, v125
	v_dot2c_f32_f16_e32 v38, v128, v122
	v_dot2c_f32_f16_e32 v39, v128, v123
	v_dot2c_f32_f16_e32 v36, v128, v124
	v_dot2c_f32_f16_e32 v37, v128, v125
	v_dot2c_f32_f16_e32 v44, v129, v122
	v_dot2c_f32_f16_e32 v45, v129, v123
	v_dot2c_f32_f16_e32 v42, v129, v124
	v_dot2c_f32_f16_e32 v43, v129, v125
	ds_read_b128 v[114:117], v86 offset:3584
	ds_read_b128 v[118:121], v87 offset:19968
	;; [unrolled: 1-line block ×4, first 2 shown]
	s_waitcnt lgkmcnt(2)
	v_dot2c_f32_f16_e32 v78, v114, v118
	v_dot2c_f32_f16_e32 v79, v114, v119
	v_dot2c_f32_f16_e32 v76, v114, v120
	v_dot2c_f32_f16_e32 v77, v114, v121
	v_dot2c_f32_f16_e32 v66, v115, v118
	v_dot2c_f32_f16_e32 v67, v115, v119
	v_dot2c_f32_f16_e32 v64, v115, v120
	v_dot2c_f32_f16_e32 v65, v115, v121
	v_dot2c_f32_f16_e32 v62, v116, v118
	v_dot2c_f32_f16_e32 v63, v116, v119
	v_dot2c_f32_f16_e32 v60, v116, v120
	v_dot2c_f32_f16_e32 v61, v116, v121
	v_dot2c_f32_f16_e32 v50, v117, v118
	v_dot2c_f32_f16_e32 v51, v117, v119
	v_dot2c_f32_f16_e32 v48, v117, v120
	v_dot2c_f32_f16_e32 v49, v117, v121
	s_waitcnt lgkmcnt(1)
	v_dot2c_f32_f16_e32 v74, v114, v122
	v_dot2c_f32_f16_e32 v75, v114, v123
	v_dot2c_f32_f16_e32 v72, v114, v124
	v_dot2c_f32_f16_e32 v73, v114, v125
	v_dot2c_f32_f16_e32 v70, v115, v122
	v_dot2c_f32_f16_e32 v71, v115, v123
	v_dot2c_f32_f16_e32 v68, v115, v124
	v_dot2c_f32_f16_e32 v69, v115, v125
	v_dot2c_f32_f16_e32 v58, v116, v122
	v_dot2c_f32_f16_e32 v59, v116, v123
	v_dot2c_f32_f16_e32 v56, v116, v124
	v_dot2c_f32_f16_e32 v57, v116, v125
	v_dot2c_f32_f16_e32 v54, v117, v122
	v_dot2c_f32_f16_e32 v55, v117, v123
	v_dot2c_f32_f16_e32 v52, v117, v124
	v_dot2c_f32_f16_e32 v53, v117, v125
	;; [unrolled: 17-line block ×3, first 2 shown]
	v_dot2c_f32_f16_e32 v22, v126, v122
	v_dot2c_f32_f16_e32 v23, v126, v123
	;; [unrolled: 1-line block ×16, first 2 shown]
	ds_read_b128 v[114:117], v86 offset:4096
	ds_read_b128 v[118:121], v87 offset:20480
	;; [unrolled: 1-line block ×4, first 2 shown]
	s_waitcnt lgkmcnt(2)
	v_dot2c_f32_f16_e32 v78, v114, v118
	v_dot2c_f32_f16_e32 v79, v114, v119
	v_dot2c_f32_f16_e32 v76, v114, v120
	v_dot2c_f32_f16_e32 v77, v114, v121
	v_dot2c_f32_f16_e32 v66, v115, v118
	v_dot2c_f32_f16_e32 v67, v115, v119
	v_dot2c_f32_f16_e32 v64, v115, v120
	v_dot2c_f32_f16_e32 v65, v115, v121
	v_dot2c_f32_f16_e32 v62, v116, v118
	v_dot2c_f32_f16_e32 v63, v116, v119
	v_dot2c_f32_f16_e32 v60, v116, v120
	v_dot2c_f32_f16_e32 v61, v116, v121
	v_dot2c_f32_f16_e32 v50, v117, v118
	v_dot2c_f32_f16_e32 v51, v117, v119
	v_dot2c_f32_f16_e32 v48, v117, v120
	v_dot2c_f32_f16_e32 v49, v117, v121
	s_waitcnt lgkmcnt(1)
	v_dot2c_f32_f16_e32 v74, v114, v122
	v_dot2c_f32_f16_e32 v75, v114, v123
	v_dot2c_f32_f16_e32 v72, v114, v124
	v_dot2c_f32_f16_e32 v73, v114, v125
	v_dot2c_f32_f16_e32 v70, v115, v122
	v_dot2c_f32_f16_e32 v71, v115, v123
	v_dot2c_f32_f16_e32 v68, v115, v124
	v_dot2c_f32_f16_e32 v69, v115, v125
	v_dot2c_f32_f16_e32 v58, v116, v122
	v_dot2c_f32_f16_e32 v59, v116, v123
	v_dot2c_f32_f16_e32 v56, v116, v124
	v_dot2c_f32_f16_e32 v57, v116, v125
	v_dot2c_f32_f16_e32 v54, v117, v122
	v_dot2c_f32_f16_e32 v55, v117, v123
	v_dot2c_f32_f16_e32 v52, v117, v124
	v_dot2c_f32_f16_e32 v53, v117, v125
	;; [unrolled: 17-line block ×3, first 2 shown]
	v_dot2c_f32_f16_e32 v22, v126, v122
	v_dot2c_f32_f16_e32 v23, v126, v123
	;; [unrolled: 1-line block ×16, first 2 shown]
	ds_read_b128 v[114:117], v86 offset:4608
	ds_read_b128 v[118:121], v87 offset:20992
	;; [unrolled: 1-line block ×4, first 2 shown]
	s_waitcnt lgkmcnt(2)
	v_dot2c_f32_f16_e32 v78, v114, v118
	v_dot2c_f32_f16_e32 v79, v114, v119
	v_dot2c_f32_f16_e32 v76, v114, v120
	v_dot2c_f32_f16_e32 v77, v114, v121
	v_dot2c_f32_f16_e32 v66, v115, v118
	v_dot2c_f32_f16_e32 v67, v115, v119
	v_dot2c_f32_f16_e32 v64, v115, v120
	v_dot2c_f32_f16_e32 v65, v115, v121
	v_dot2c_f32_f16_e32 v62, v116, v118
	v_dot2c_f32_f16_e32 v63, v116, v119
	v_dot2c_f32_f16_e32 v60, v116, v120
	v_dot2c_f32_f16_e32 v61, v116, v121
	v_dot2c_f32_f16_e32 v50, v117, v118
	v_dot2c_f32_f16_e32 v51, v117, v119
	v_dot2c_f32_f16_e32 v48, v117, v120
	v_dot2c_f32_f16_e32 v49, v117, v121
	s_waitcnt lgkmcnt(1)
	v_dot2c_f32_f16_e32 v74, v114, v122
	v_dot2c_f32_f16_e32 v75, v114, v123
	v_dot2c_f32_f16_e32 v72, v114, v124
	v_dot2c_f32_f16_e32 v73, v114, v125
	v_dot2c_f32_f16_e32 v70, v115, v122
	v_dot2c_f32_f16_e32 v71, v115, v123
	v_dot2c_f32_f16_e32 v68, v115, v124
	v_dot2c_f32_f16_e32 v69, v115, v125
	v_dot2c_f32_f16_e32 v58, v116, v122
	v_dot2c_f32_f16_e32 v59, v116, v123
	v_dot2c_f32_f16_e32 v56, v116, v124
	v_dot2c_f32_f16_e32 v57, v116, v125
	v_dot2c_f32_f16_e32 v54, v117, v122
	v_dot2c_f32_f16_e32 v55, v117, v123
	v_dot2c_f32_f16_e32 v52, v117, v124
	v_dot2c_f32_f16_e32 v53, v117, v125
	;; [unrolled: 17-line block ×3, first 2 shown]
	v_dot2c_f32_f16_e32 v22, v126, v122
	v_dot2c_f32_f16_e32 v23, v126, v123
	;; [unrolled: 1-line block ×16, first 2 shown]
	ds_read_b128 v[114:117], v86 offset:5120
	ds_read_b128 v[118:121], v87 offset:21504
	;; [unrolled: 1-line block ×4, first 2 shown]
	s_waitcnt lgkmcnt(2)
	v_dot2c_f32_f16_e32 v78, v114, v118
	v_dot2c_f32_f16_e32 v79, v114, v119
	v_dot2c_f32_f16_e32 v76, v114, v120
	v_dot2c_f32_f16_e32 v77, v114, v121
	v_dot2c_f32_f16_e32 v66, v115, v118
	v_dot2c_f32_f16_e32 v67, v115, v119
	v_dot2c_f32_f16_e32 v64, v115, v120
	v_dot2c_f32_f16_e32 v65, v115, v121
	v_dot2c_f32_f16_e32 v62, v116, v118
	v_dot2c_f32_f16_e32 v63, v116, v119
	v_dot2c_f32_f16_e32 v60, v116, v120
	v_dot2c_f32_f16_e32 v61, v116, v121
	v_dot2c_f32_f16_e32 v50, v117, v118
	v_dot2c_f32_f16_e32 v51, v117, v119
	v_dot2c_f32_f16_e32 v48, v117, v120
	v_dot2c_f32_f16_e32 v49, v117, v121
	s_waitcnt lgkmcnt(1)
	v_dot2c_f32_f16_e32 v74, v114, v122
	v_dot2c_f32_f16_e32 v75, v114, v123
	v_dot2c_f32_f16_e32 v72, v114, v124
	v_dot2c_f32_f16_e32 v73, v114, v125
	v_dot2c_f32_f16_e32 v70, v115, v122
	v_dot2c_f32_f16_e32 v71, v115, v123
	v_dot2c_f32_f16_e32 v68, v115, v124
	v_dot2c_f32_f16_e32 v69, v115, v125
	v_dot2c_f32_f16_e32 v58, v116, v122
	v_dot2c_f32_f16_e32 v59, v116, v123
	v_dot2c_f32_f16_e32 v56, v116, v124
	v_dot2c_f32_f16_e32 v57, v116, v125
	v_dot2c_f32_f16_e32 v54, v117, v122
	v_dot2c_f32_f16_e32 v55, v117, v123
	v_dot2c_f32_f16_e32 v52, v117, v124
	v_dot2c_f32_f16_e32 v53, v117, v125
	;; [unrolled: 17-line block ×3, first 2 shown]
	v_dot2c_f32_f16_e32 v22, v126, v122
	v_dot2c_f32_f16_e32 v23, v126, v123
	;; [unrolled: 1-line block ×16, first 2 shown]
	ds_read_b128 v[114:117], v86 offset:5632
	ds_read_b128 v[118:121], v87 offset:22016
	;; [unrolled: 1-line block ×4, first 2 shown]
	s_waitcnt lgkmcnt(2)
	v_dot2c_f32_f16_e32 v78, v114, v118
	v_dot2c_f32_f16_e32 v79, v114, v119
	v_dot2c_f32_f16_e32 v76, v114, v120
	v_dot2c_f32_f16_e32 v77, v114, v121
	v_dot2c_f32_f16_e32 v66, v115, v118
	v_dot2c_f32_f16_e32 v67, v115, v119
	v_dot2c_f32_f16_e32 v64, v115, v120
	v_dot2c_f32_f16_e32 v65, v115, v121
	v_dot2c_f32_f16_e32 v62, v116, v118
	v_dot2c_f32_f16_e32 v63, v116, v119
	v_dot2c_f32_f16_e32 v60, v116, v120
	v_dot2c_f32_f16_e32 v61, v116, v121
	v_dot2c_f32_f16_e32 v50, v117, v118
	v_dot2c_f32_f16_e32 v51, v117, v119
	v_dot2c_f32_f16_e32 v48, v117, v120
	v_dot2c_f32_f16_e32 v49, v117, v121
	s_waitcnt lgkmcnt(1)
	v_dot2c_f32_f16_e32 v74, v114, v122
	v_dot2c_f32_f16_e32 v75, v114, v123
	v_dot2c_f32_f16_e32 v72, v114, v124
	v_dot2c_f32_f16_e32 v73, v114, v125
	v_dot2c_f32_f16_e32 v70, v115, v122
	v_dot2c_f32_f16_e32 v71, v115, v123
	v_dot2c_f32_f16_e32 v68, v115, v124
	v_dot2c_f32_f16_e32 v69, v115, v125
	v_dot2c_f32_f16_e32 v58, v116, v122
	v_dot2c_f32_f16_e32 v59, v116, v123
	v_dot2c_f32_f16_e32 v56, v116, v124
	v_dot2c_f32_f16_e32 v57, v116, v125
	v_dot2c_f32_f16_e32 v54, v117, v122
	v_dot2c_f32_f16_e32 v55, v117, v123
	v_dot2c_f32_f16_e32 v52, v117, v124
	v_dot2c_f32_f16_e32 v53, v117, v125
	;; [unrolled: 17-line block ×3, first 2 shown]
	v_dot2c_f32_f16_e32 v22, v126, v122
	v_dot2c_f32_f16_e32 v23, v126, v123
	;; [unrolled: 1-line block ×16, first 2 shown]
	ds_read_b128 v[114:117], v86 offset:6144
	ds_read_b128 v[118:121], v87 offset:22528
	;; [unrolled: 1-line block ×4, first 2 shown]
	s_waitcnt lgkmcnt(2)
	v_dot2c_f32_f16_e32 v78, v114, v118
	v_dot2c_f32_f16_e32 v79, v114, v119
	v_dot2c_f32_f16_e32 v76, v114, v120
	v_dot2c_f32_f16_e32 v77, v114, v121
	v_dot2c_f32_f16_e32 v66, v115, v118
	v_dot2c_f32_f16_e32 v67, v115, v119
	v_dot2c_f32_f16_e32 v64, v115, v120
	v_dot2c_f32_f16_e32 v65, v115, v121
	v_dot2c_f32_f16_e32 v62, v116, v118
	v_dot2c_f32_f16_e32 v63, v116, v119
	v_dot2c_f32_f16_e32 v60, v116, v120
	v_dot2c_f32_f16_e32 v61, v116, v121
	v_dot2c_f32_f16_e32 v50, v117, v118
	v_dot2c_f32_f16_e32 v51, v117, v119
	v_dot2c_f32_f16_e32 v48, v117, v120
	v_dot2c_f32_f16_e32 v49, v117, v121
	s_waitcnt lgkmcnt(1)
	v_dot2c_f32_f16_e32 v74, v114, v122
	v_dot2c_f32_f16_e32 v75, v114, v123
	v_dot2c_f32_f16_e32 v72, v114, v124
	v_dot2c_f32_f16_e32 v73, v114, v125
	v_dot2c_f32_f16_e32 v70, v115, v122
	v_dot2c_f32_f16_e32 v71, v115, v123
	v_dot2c_f32_f16_e32 v68, v115, v124
	v_dot2c_f32_f16_e32 v69, v115, v125
	v_dot2c_f32_f16_e32 v58, v116, v122
	v_dot2c_f32_f16_e32 v59, v116, v123
	v_dot2c_f32_f16_e32 v56, v116, v124
	v_dot2c_f32_f16_e32 v57, v116, v125
	v_dot2c_f32_f16_e32 v54, v117, v122
	v_dot2c_f32_f16_e32 v55, v117, v123
	v_dot2c_f32_f16_e32 v52, v117, v124
	v_dot2c_f32_f16_e32 v53, v117, v125
	s_waitcnt lgkmcnt(0)
	v_dot2c_f32_f16_e32 v18, v126, v118
	v_dot2c_f32_f16_e32 v19, v126, v119
	v_dot2c_f32_f16_e32 v16, v126, v120
	v_dot2c_f32_f16_e32 v17, v126, v121
	v_dot2c_f32_f16_e32 v30, v127, v118
	v_dot2c_f32_f16_e32 v31, v127, v119
	v_dot2c_f32_f16_e32 v28, v127, v120
	v_dot2c_f32_f16_e32 v29, v127, v121
	v_dot2c_f32_f16_e32 v34, v128, v118
	v_dot2c_f32_f16_e32 v35, v128, v119
	v_dot2c_f32_f16_e32 v32, v128, v120
	v_dot2c_f32_f16_e32 v33, v128, v121
	v_dot2c_f32_f16_e32 v40, v129, v118
	v_dot2c_f32_f16_e32 v41, v129, v119
	v_dot2c_f32_f16_e32 v46, v129, v120
	v_dot2c_f32_f16_e32 v47, v129, v121
	v_dot2c_f32_f16_e32 v22, v126, v122
	v_dot2c_f32_f16_e32 v23, v126, v123
	;; [unrolled: 1-line block ×16, first 2 shown]
	ds_read_b128 v[114:117], v86 offset:6656
	ds_read_b128 v[118:121], v87 offset:23040
	;; [unrolled: 1-line block ×4, first 2 shown]
	s_waitcnt lgkmcnt(2)
	v_dot2c_f32_f16_e32 v78, v114, v118
	v_dot2c_f32_f16_e32 v79, v114, v119
	v_dot2c_f32_f16_e32 v76, v114, v120
	v_dot2c_f32_f16_e32 v77, v114, v121
	v_dot2c_f32_f16_e32 v66, v115, v118
	v_dot2c_f32_f16_e32 v67, v115, v119
	v_dot2c_f32_f16_e32 v64, v115, v120
	v_dot2c_f32_f16_e32 v65, v115, v121
	v_dot2c_f32_f16_e32 v62, v116, v118
	v_dot2c_f32_f16_e32 v63, v116, v119
	v_dot2c_f32_f16_e32 v60, v116, v120
	v_dot2c_f32_f16_e32 v61, v116, v121
	v_dot2c_f32_f16_e32 v50, v117, v118
	v_dot2c_f32_f16_e32 v51, v117, v119
	v_dot2c_f32_f16_e32 v48, v117, v120
	v_dot2c_f32_f16_e32 v49, v117, v121
	s_waitcnt lgkmcnt(1)
	v_dot2c_f32_f16_e32 v74, v114, v122
	v_dot2c_f32_f16_e32 v75, v114, v123
	v_dot2c_f32_f16_e32 v72, v114, v124
	v_dot2c_f32_f16_e32 v73, v114, v125
	v_dot2c_f32_f16_e32 v70, v115, v122
	v_dot2c_f32_f16_e32 v71, v115, v123
	v_dot2c_f32_f16_e32 v68, v115, v124
	v_dot2c_f32_f16_e32 v69, v115, v125
	v_dot2c_f32_f16_e32 v58, v116, v122
	v_dot2c_f32_f16_e32 v59, v116, v123
	v_dot2c_f32_f16_e32 v56, v116, v124
	v_dot2c_f32_f16_e32 v57, v116, v125
	v_dot2c_f32_f16_e32 v54, v117, v122
	v_dot2c_f32_f16_e32 v55, v117, v123
	v_dot2c_f32_f16_e32 v52, v117, v124
	v_dot2c_f32_f16_e32 v53, v117, v125
	;; [unrolled: 17-line block ×3, first 2 shown]
	v_dot2c_f32_f16_e32 v22, v126, v122
	v_dot2c_f32_f16_e32 v23, v126, v123
	;; [unrolled: 1-line block ×16, first 2 shown]
	ds_read_b128 v[114:117], v86 offset:7168
	ds_read_b128 v[118:121], v87 offset:23552
	;; [unrolled: 1-line block ×4, first 2 shown]
	s_waitcnt lgkmcnt(2)
	v_dot2c_f32_f16_e32 v78, v114, v118
	v_dot2c_f32_f16_e32 v79, v114, v119
	v_dot2c_f32_f16_e32 v76, v114, v120
	v_dot2c_f32_f16_e32 v77, v114, v121
	v_dot2c_f32_f16_e32 v66, v115, v118
	v_dot2c_f32_f16_e32 v67, v115, v119
	v_dot2c_f32_f16_e32 v64, v115, v120
	v_dot2c_f32_f16_e32 v65, v115, v121
	v_dot2c_f32_f16_e32 v62, v116, v118
	v_dot2c_f32_f16_e32 v63, v116, v119
	v_dot2c_f32_f16_e32 v60, v116, v120
	v_dot2c_f32_f16_e32 v61, v116, v121
	v_dot2c_f32_f16_e32 v50, v117, v118
	v_dot2c_f32_f16_e32 v51, v117, v119
	v_dot2c_f32_f16_e32 v48, v117, v120
	v_dot2c_f32_f16_e32 v49, v117, v121
	s_waitcnt lgkmcnt(1)
	v_dot2c_f32_f16_e32 v74, v114, v122
	v_dot2c_f32_f16_e32 v75, v114, v123
	v_dot2c_f32_f16_e32 v72, v114, v124
	v_dot2c_f32_f16_e32 v73, v114, v125
	v_dot2c_f32_f16_e32 v70, v115, v122
	v_dot2c_f32_f16_e32 v71, v115, v123
	v_dot2c_f32_f16_e32 v68, v115, v124
	v_dot2c_f32_f16_e32 v69, v115, v125
	v_dot2c_f32_f16_e32 v58, v116, v122
	v_dot2c_f32_f16_e32 v59, v116, v123
	v_dot2c_f32_f16_e32 v56, v116, v124
	v_dot2c_f32_f16_e32 v57, v116, v125
	v_dot2c_f32_f16_e32 v54, v117, v122
	v_dot2c_f32_f16_e32 v55, v117, v123
	v_dot2c_f32_f16_e32 v52, v117, v124
	v_dot2c_f32_f16_e32 v53, v117, v125
	;; [unrolled: 17-line block ×3, first 2 shown]
	v_dot2c_f32_f16_e32 v22, v126, v122
	v_dot2c_f32_f16_e32 v23, v126, v123
	;; [unrolled: 1-line block ×16, first 2 shown]
	ds_read_b128 v[114:117], v86 offset:7680
	ds_read_b128 v[118:121], v87 offset:24064
	;; [unrolled: 1-line block ×4, first 2 shown]
	s_waitcnt lgkmcnt(2)
	v_dot2c_f32_f16_e32 v78, v114, v118
	v_dot2c_f32_f16_e32 v79, v114, v119
	;; [unrolled: 1-line block ×8, first 2 shown]
	s_waitcnt lgkmcnt(1)
	v_dot2c_f32_f16_e32 v74, v114, v122
	v_dot2c_f32_f16_e32 v75, v114, v123
	;; [unrolled: 1-line block ×8, first 2 shown]
	v_mad_u64_u32 v[114:115], s[4:5], s56, v113, v[80:81]
	v_sub_u32_e32 v115, v114, v82
	v_add_u32_e32 v82, s54, v102
	v_add_u32_e32 v83, v82, v83
	v_lshrrev_b32_e32 v83, s49, v83
	v_dot2c_f32_f16_e32 v62, v116, v118
	v_dot2c_f32_f16_e32 v63, v116, v119
	;; [unrolled: 1-line block ×16, first 2 shown]
	v_mad_u64_u32 v[116:117], s[4:5], s56, v83, v[82:83]
	v_sub_u32_e32 v114, v116, v114
	v_add_u32_e32 v116, s58, v93
	v_cmp_gt_i32_e64 s[4:5], s52, v116
	s_and_b64 s[4:5], s[2:3], s[4:5]
	v_add_u32_e32 v116, s58, v92
	s_waitcnt vmcnt(3)
	v_cndmask_b32_e64 v15, 0, v15, s[4:5]
	v_cndmask_b32_e64 v14, 0, v14, s[4:5]
	;; [unrolled: 1-line block ×4, first 2 shown]
	v_cmp_gt_i32_e64 s[4:5], s52, v116
	s_and_b64 s[4:5], s[2:3], s[4:5]
	s_waitcnt lgkmcnt(0)
	v_dot2c_f32_f16_e32 v18, v126, v118
	s_waitcnt vmcnt(2)
	v_cndmask_b32_e64 v11, 0, v11, s[4:5]
	v_cndmask_b32_e64 v10, 0, v10, s[4:5]
	v_cndmask_b32_e64 v9, 0, v9, s[4:5]
	v_cndmask_b32_e64 v8, 0, v8, s[4:5]
	v_cmp_gt_i32_e64 s[4:5], s53, v108
	s_and_b64 s[4:5], s[8:9], s[4:5]
	s_and_b64 s[4:5], s[4:5], s[6:7]
	s_and_b64 s[4:5], vcc, s[4:5]
	v_add_u32_e32 v108, v112, v107
	s_waitcnt vmcnt(1)
	v_cndmask_b32_e64 v7, 0, v7, s[4:5]
	v_cndmask_b32_e64 v6, 0, v6, s[4:5]
	;; [unrolled: 1-line block ×4, first 2 shown]
	v_cmp_gt_i32_e64 s[4:5], s53, v84
	v_cmp_gt_i32_e64 s[8:9], s16, v108
	v_cmp_le_i32_e64 s[6:7], s46, v108
	s_and_b64 s[4:5], s[8:9], s[4:5]
	s_and_b64 s[4:5], s[4:5], s[6:7]
	s_and_b64 s[4:5], vcc, s[4:5]
	v_sub_u32_e32 v84, v113, v110
	s_waitcnt vmcnt(0)
	v_cndmask_b32_e64 v0, 0, v0, s[4:5]
	v_mul_lo_u32 v109, v84, s44
	v_cndmask_b32_e64 v3, 0, v3, s[4:5]
	v_cndmask_b32_e64 v2, 0, v2, s[4:5]
	;; [unrolled: 1-line block ×3, first 2 shown]
	v_mul_lo_u32 v84, v115, s14
	v_mul_lo_u32 v107, v109, s13
	ds_write2st64_b32 v89, v12, v13 offset0:96 offset1:98
	ds_write2st64_b32 v89, v14, v15 offset0:100 offset1:102
	;; [unrolled: 1-line block ×8, first 2 shown]
	v_sub_u32_e32 v0, v83, v113
	v_add3_u32 v110, v84, v107, v111
	v_mul_lo_u32 v107, v0, s44
	v_mul_lo_u32 v0, v114, s14
	;; [unrolled: 1-line block ×3, first 2 shown]
	v_add3_u32 v84, v0, v1, v110
	v_lshlrev_b32_e32 v0, 1, v110
	v_add_u32_e32 v1, v96, v95
	v_add_u32_e32 v2, v94, v95
	v_lshlrev_b32_e32 v3, 1, v84
	v_dot2c_f32_f16_e32 v19, v126, v119
	v_dot2c_f32_f16_e32 v16, v126, v120
	;; [unrolled: 1-line block ×31, first 2 shown]
	buffer_load_dwordx4 v[12:15], v1, s[28:31], 0 offen
	buffer_load_dwordx4 v[8:11], v2, s[28:31], 0 offen
	;; [unrolled: 1-line block ×3, first 2 shown]
	s_nop 0
	buffer_load_dwordx4 v[0:3], v3, s[20:23], 0 offen
	s_waitcnt lgkmcnt(0)
	s_barrier
	ds_read_b128 v[110:113], v86 offset:8192
	ds_read_b128 v[114:117], v87 offset:24576
	;; [unrolled: 1-line block ×4, first 2 shown]
	s_add_i32 s54, s54, s55
	v_add_u32_e32 v95, s39, v95
	s_waitcnt lgkmcnt(2)
	v_dot2c_f32_f16_e32 v78, v110, v114
	v_dot2c_f32_f16_e32 v79, v110, v115
	v_dot2c_f32_f16_e32 v76, v110, v116
	v_dot2c_f32_f16_e32 v77, v110, v117
	v_dot2c_f32_f16_e32 v66, v111, v114
	v_dot2c_f32_f16_e32 v67, v111, v115
	v_dot2c_f32_f16_e32 v64, v111, v116
	v_dot2c_f32_f16_e32 v65, v111, v117
	v_dot2c_f32_f16_e32 v62, v112, v114
	v_dot2c_f32_f16_e32 v63, v112, v115
	v_dot2c_f32_f16_e32 v60, v112, v116
	v_dot2c_f32_f16_e32 v61, v112, v117
	v_dot2c_f32_f16_e32 v50, v113, v114
	v_dot2c_f32_f16_e32 v51, v113, v115
	v_dot2c_f32_f16_e32 v48, v113, v116
	v_dot2c_f32_f16_e32 v49, v113, v117
	s_waitcnt lgkmcnt(1)
	v_dot2c_f32_f16_e32 v74, v110, v118
	v_dot2c_f32_f16_e32 v75, v110, v119
	v_dot2c_f32_f16_e32 v72, v110, v120
	v_dot2c_f32_f16_e32 v73, v110, v121
	v_dot2c_f32_f16_e32 v70, v111, v118
	v_dot2c_f32_f16_e32 v71, v111, v119
	v_dot2c_f32_f16_e32 v68, v111, v120
	v_dot2c_f32_f16_e32 v69, v111, v121
	v_dot2c_f32_f16_e32 v58, v112, v118
	v_dot2c_f32_f16_e32 v59, v112, v119
	v_dot2c_f32_f16_e32 v56, v112, v120
	v_dot2c_f32_f16_e32 v57, v112, v121
	v_dot2c_f32_f16_e32 v54, v113, v118
	v_dot2c_f32_f16_e32 v55, v113, v119
	v_dot2c_f32_f16_e32 v52, v113, v120
	v_dot2c_f32_f16_e32 v53, v113, v121
	;; [unrolled: 17-line block ×3, first 2 shown]
	v_dot2c_f32_f16_e32 v22, v122, v118
	v_dot2c_f32_f16_e32 v23, v122, v119
	;; [unrolled: 1-line block ×16, first 2 shown]
	ds_read_b128 v[110:113], v86 offset:8704
	ds_read_b128 v[114:117], v87 offset:25088
	ds_read_b128 v[118:121], v87 offset:25344
	ds_read_b128 v[122:125], v86 offset:8960
	s_waitcnt lgkmcnt(2)
	v_dot2c_f32_f16_e32 v78, v110, v114
	v_dot2c_f32_f16_e32 v79, v110, v115
	v_dot2c_f32_f16_e32 v76, v110, v116
	v_dot2c_f32_f16_e32 v77, v110, v117
	v_dot2c_f32_f16_e32 v66, v111, v114
	v_dot2c_f32_f16_e32 v67, v111, v115
	v_dot2c_f32_f16_e32 v64, v111, v116
	v_dot2c_f32_f16_e32 v65, v111, v117
	v_dot2c_f32_f16_e32 v62, v112, v114
	v_dot2c_f32_f16_e32 v63, v112, v115
	v_dot2c_f32_f16_e32 v60, v112, v116
	v_dot2c_f32_f16_e32 v61, v112, v117
	v_dot2c_f32_f16_e32 v50, v113, v114
	v_dot2c_f32_f16_e32 v51, v113, v115
	v_dot2c_f32_f16_e32 v48, v113, v116
	v_dot2c_f32_f16_e32 v49, v113, v117
	s_waitcnt lgkmcnt(1)
	v_dot2c_f32_f16_e32 v74, v110, v118
	v_dot2c_f32_f16_e32 v75, v110, v119
	v_dot2c_f32_f16_e32 v72, v110, v120
	v_dot2c_f32_f16_e32 v73, v110, v121
	v_dot2c_f32_f16_e32 v70, v111, v118
	v_dot2c_f32_f16_e32 v71, v111, v119
	v_dot2c_f32_f16_e32 v68, v111, v120
	v_dot2c_f32_f16_e32 v69, v111, v121
	v_dot2c_f32_f16_e32 v58, v112, v118
	v_dot2c_f32_f16_e32 v59, v112, v119
	v_dot2c_f32_f16_e32 v56, v112, v120
	v_dot2c_f32_f16_e32 v57, v112, v121
	v_dot2c_f32_f16_e32 v54, v113, v118
	v_dot2c_f32_f16_e32 v55, v113, v119
	v_dot2c_f32_f16_e32 v52, v113, v120
	v_dot2c_f32_f16_e32 v53, v113, v121
	;; [unrolled: 17-line block ×3, first 2 shown]
	v_dot2c_f32_f16_e32 v22, v122, v118
	v_dot2c_f32_f16_e32 v23, v122, v119
	v_dot2c_f32_f16_e32 v20, v122, v120
	v_dot2c_f32_f16_e32 v21, v122, v121
	v_dot2c_f32_f16_e32 v26, v123, v118
	v_dot2c_f32_f16_e32 v27, v123, v119
	v_dot2c_f32_f16_e32 v24, v123, v120
	v_dot2c_f32_f16_e32 v25, v123, v121
	v_dot2c_f32_f16_e32 v38, v124, v118
	v_dot2c_f32_f16_e32 v39, v124, v119
	v_dot2c_f32_f16_e32 v36, v124, v120
	v_dot2c_f32_f16_e32 v37, v124, v121
	v_dot2c_f32_f16_e32 v44, v125, v118
	v_dot2c_f32_f16_e32 v45, v125, v119
	v_dot2c_f32_f16_e32 v42, v125, v120
	v_dot2c_f32_f16_e32 v43, v125, v121
	ds_read_b128 v[110:113], v86 offset:9216
	ds_read_b128 v[114:117], v87 offset:25600
	ds_read_b128 v[118:121], v87 offset:25856
	ds_read_b128 v[122:125], v86 offset:9472
	s_waitcnt lgkmcnt(2)
	v_dot2c_f32_f16_e32 v78, v110, v114
	v_dot2c_f32_f16_e32 v79, v110, v115
	v_dot2c_f32_f16_e32 v76, v110, v116
	v_dot2c_f32_f16_e32 v77, v110, v117
	v_dot2c_f32_f16_e32 v66, v111, v114
	v_dot2c_f32_f16_e32 v67, v111, v115
	v_dot2c_f32_f16_e32 v64, v111, v116
	v_dot2c_f32_f16_e32 v65, v111, v117
	v_dot2c_f32_f16_e32 v62, v112, v114
	v_dot2c_f32_f16_e32 v63, v112, v115
	v_dot2c_f32_f16_e32 v60, v112, v116
	v_dot2c_f32_f16_e32 v61, v112, v117
	v_dot2c_f32_f16_e32 v50, v113, v114
	v_dot2c_f32_f16_e32 v51, v113, v115
	v_dot2c_f32_f16_e32 v48, v113, v116
	v_dot2c_f32_f16_e32 v49, v113, v117
	s_waitcnt lgkmcnt(1)
	v_dot2c_f32_f16_e32 v74, v110, v118
	v_dot2c_f32_f16_e32 v75, v110, v119
	v_dot2c_f32_f16_e32 v72, v110, v120
	v_dot2c_f32_f16_e32 v73, v110, v121
	v_dot2c_f32_f16_e32 v70, v111, v118
	v_dot2c_f32_f16_e32 v71, v111, v119
	v_dot2c_f32_f16_e32 v68, v111, v120
	v_dot2c_f32_f16_e32 v69, v111, v121
	v_dot2c_f32_f16_e32 v58, v112, v118
	v_dot2c_f32_f16_e32 v59, v112, v119
	v_dot2c_f32_f16_e32 v56, v112, v120
	v_dot2c_f32_f16_e32 v57, v112, v121
	v_dot2c_f32_f16_e32 v54, v113, v118
	v_dot2c_f32_f16_e32 v55, v113, v119
	v_dot2c_f32_f16_e32 v52, v113, v120
	v_dot2c_f32_f16_e32 v53, v113, v121
	;; [unrolled: 17-line block ×3, first 2 shown]
	v_dot2c_f32_f16_e32 v22, v122, v118
	v_dot2c_f32_f16_e32 v23, v122, v119
	;; [unrolled: 1-line block ×16, first 2 shown]
	ds_read_b128 v[110:113], v86 offset:9728
	ds_read_b128 v[114:117], v87 offset:26112
	;; [unrolled: 1-line block ×4, first 2 shown]
	s_waitcnt lgkmcnt(2)
	v_dot2c_f32_f16_e32 v78, v110, v114
	v_dot2c_f32_f16_e32 v79, v110, v115
	v_dot2c_f32_f16_e32 v76, v110, v116
	v_dot2c_f32_f16_e32 v77, v110, v117
	v_dot2c_f32_f16_e32 v66, v111, v114
	v_dot2c_f32_f16_e32 v67, v111, v115
	v_dot2c_f32_f16_e32 v64, v111, v116
	v_dot2c_f32_f16_e32 v65, v111, v117
	v_dot2c_f32_f16_e32 v62, v112, v114
	v_dot2c_f32_f16_e32 v63, v112, v115
	v_dot2c_f32_f16_e32 v60, v112, v116
	v_dot2c_f32_f16_e32 v61, v112, v117
	v_dot2c_f32_f16_e32 v50, v113, v114
	v_dot2c_f32_f16_e32 v51, v113, v115
	v_dot2c_f32_f16_e32 v48, v113, v116
	v_dot2c_f32_f16_e32 v49, v113, v117
	s_waitcnt lgkmcnt(1)
	v_dot2c_f32_f16_e32 v74, v110, v118
	v_dot2c_f32_f16_e32 v75, v110, v119
	v_dot2c_f32_f16_e32 v72, v110, v120
	v_dot2c_f32_f16_e32 v73, v110, v121
	v_dot2c_f32_f16_e32 v70, v111, v118
	v_dot2c_f32_f16_e32 v71, v111, v119
	v_dot2c_f32_f16_e32 v68, v111, v120
	v_dot2c_f32_f16_e32 v69, v111, v121
	v_dot2c_f32_f16_e32 v58, v112, v118
	v_dot2c_f32_f16_e32 v59, v112, v119
	v_dot2c_f32_f16_e32 v56, v112, v120
	v_dot2c_f32_f16_e32 v57, v112, v121
	v_dot2c_f32_f16_e32 v54, v113, v118
	v_dot2c_f32_f16_e32 v55, v113, v119
	v_dot2c_f32_f16_e32 v52, v113, v120
	v_dot2c_f32_f16_e32 v53, v113, v121
	;; [unrolled: 17-line block ×3, first 2 shown]
	v_dot2c_f32_f16_e32 v22, v122, v118
	v_dot2c_f32_f16_e32 v23, v122, v119
	;; [unrolled: 1-line block ×16, first 2 shown]
	ds_read_b128 v[110:113], v86 offset:10240
	ds_read_b128 v[114:117], v87 offset:26624
	;; [unrolled: 1-line block ×4, first 2 shown]
	s_waitcnt lgkmcnt(2)
	v_dot2c_f32_f16_e32 v78, v110, v114
	v_dot2c_f32_f16_e32 v79, v110, v115
	v_dot2c_f32_f16_e32 v76, v110, v116
	v_dot2c_f32_f16_e32 v77, v110, v117
	v_dot2c_f32_f16_e32 v66, v111, v114
	v_dot2c_f32_f16_e32 v67, v111, v115
	v_dot2c_f32_f16_e32 v64, v111, v116
	v_dot2c_f32_f16_e32 v65, v111, v117
	v_dot2c_f32_f16_e32 v62, v112, v114
	v_dot2c_f32_f16_e32 v63, v112, v115
	v_dot2c_f32_f16_e32 v60, v112, v116
	v_dot2c_f32_f16_e32 v61, v112, v117
	v_dot2c_f32_f16_e32 v50, v113, v114
	v_dot2c_f32_f16_e32 v51, v113, v115
	v_dot2c_f32_f16_e32 v48, v113, v116
	v_dot2c_f32_f16_e32 v49, v113, v117
	s_waitcnt lgkmcnt(1)
	v_dot2c_f32_f16_e32 v74, v110, v118
	v_dot2c_f32_f16_e32 v75, v110, v119
	v_dot2c_f32_f16_e32 v72, v110, v120
	v_dot2c_f32_f16_e32 v73, v110, v121
	v_dot2c_f32_f16_e32 v70, v111, v118
	v_dot2c_f32_f16_e32 v71, v111, v119
	v_dot2c_f32_f16_e32 v68, v111, v120
	v_dot2c_f32_f16_e32 v69, v111, v121
	v_dot2c_f32_f16_e32 v58, v112, v118
	v_dot2c_f32_f16_e32 v59, v112, v119
	v_dot2c_f32_f16_e32 v56, v112, v120
	v_dot2c_f32_f16_e32 v57, v112, v121
	v_dot2c_f32_f16_e32 v54, v113, v118
	v_dot2c_f32_f16_e32 v55, v113, v119
	v_dot2c_f32_f16_e32 v52, v113, v120
	v_dot2c_f32_f16_e32 v53, v113, v121
	;; [unrolled: 17-line block ×3, first 2 shown]
	v_dot2c_f32_f16_e32 v22, v122, v118
	v_dot2c_f32_f16_e32 v23, v122, v119
	;; [unrolled: 1-line block ×16, first 2 shown]
	ds_read_b128 v[110:113], v86 offset:10752
	ds_read_b128 v[114:117], v87 offset:27136
	;; [unrolled: 1-line block ×4, first 2 shown]
	s_waitcnt lgkmcnt(2)
	v_dot2c_f32_f16_e32 v78, v110, v114
	v_dot2c_f32_f16_e32 v79, v110, v115
	v_dot2c_f32_f16_e32 v76, v110, v116
	v_dot2c_f32_f16_e32 v77, v110, v117
	v_dot2c_f32_f16_e32 v66, v111, v114
	v_dot2c_f32_f16_e32 v67, v111, v115
	v_dot2c_f32_f16_e32 v64, v111, v116
	v_dot2c_f32_f16_e32 v65, v111, v117
	v_dot2c_f32_f16_e32 v62, v112, v114
	v_dot2c_f32_f16_e32 v63, v112, v115
	v_dot2c_f32_f16_e32 v60, v112, v116
	v_dot2c_f32_f16_e32 v61, v112, v117
	v_dot2c_f32_f16_e32 v50, v113, v114
	v_dot2c_f32_f16_e32 v51, v113, v115
	v_dot2c_f32_f16_e32 v48, v113, v116
	v_dot2c_f32_f16_e32 v49, v113, v117
	s_waitcnt lgkmcnt(1)
	v_dot2c_f32_f16_e32 v74, v110, v118
	v_dot2c_f32_f16_e32 v75, v110, v119
	v_dot2c_f32_f16_e32 v72, v110, v120
	v_dot2c_f32_f16_e32 v73, v110, v121
	v_dot2c_f32_f16_e32 v70, v111, v118
	v_dot2c_f32_f16_e32 v71, v111, v119
	v_dot2c_f32_f16_e32 v68, v111, v120
	v_dot2c_f32_f16_e32 v69, v111, v121
	v_dot2c_f32_f16_e32 v58, v112, v118
	v_dot2c_f32_f16_e32 v59, v112, v119
	v_dot2c_f32_f16_e32 v56, v112, v120
	v_dot2c_f32_f16_e32 v57, v112, v121
	v_dot2c_f32_f16_e32 v54, v113, v118
	v_dot2c_f32_f16_e32 v55, v113, v119
	v_dot2c_f32_f16_e32 v52, v113, v120
	v_dot2c_f32_f16_e32 v53, v113, v121
	;; [unrolled: 17-line block ×3, first 2 shown]
	v_dot2c_f32_f16_e32 v22, v122, v118
	v_dot2c_f32_f16_e32 v23, v122, v119
	;; [unrolled: 1-line block ×16, first 2 shown]
	ds_read_b128 v[110:113], v86 offset:11264
	ds_read_b128 v[114:117], v87 offset:27648
	;; [unrolled: 1-line block ×4, first 2 shown]
	s_waitcnt lgkmcnt(2)
	v_dot2c_f32_f16_e32 v78, v110, v114
	v_dot2c_f32_f16_e32 v79, v110, v115
	v_dot2c_f32_f16_e32 v76, v110, v116
	v_dot2c_f32_f16_e32 v77, v110, v117
	v_dot2c_f32_f16_e32 v66, v111, v114
	v_dot2c_f32_f16_e32 v67, v111, v115
	v_dot2c_f32_f16_e32 v64, v111, v116
	v_dot2c_f32_f16_e32 v65, v111, v117
	v_dot2c_f32_f16_e32 v62, v112, v114
	v_dot2c_f32_f16_e32 v63, v112, v115
	v_dot2c_f32_f16_e32 v60, v112, v116
	v_dot2c_f32_f16_e32 v61, v112, v117
	v_dot2c_f32_f16_e32 v50, v113, v114
	v_dot2c_f32_f16_e32 v51, v113, v115
	v_dot2c_f32_f16_e32 v48, v113, v116
	v_dot2c_f32_f16_e32 v49, v113, v117
	s_waitcnt lgkmcnt(1)
	v_dot2c_f32_f16_e32 v74, v110, v118
	v_dot2c_f32_f16_e32 v75, v110, v119
	v_dot2c_f32_f16_e32 v72, v110, v120
	v_dot2c_f32_f16_e32 v73, v110, v121
	v_dot2c_f32_f16_e32 v70, v111, v118
	v_dot2c_f32_f16_e32 v71, v111, v119
	v_dot2c_f32_f16_e32 v68, v111, v120
	v_dot2c_f32_f16_e32 v69, v111, v121
	v_dot2c_f32_f16_e32 v58, v112, v118
	v_dot2c_f32_f16_e32 v59, v112, v119
	v_dot2c_f32_f16_e32 v56, v112, v120
	v_dot2c_f32_f16_e32 v57, v112, v121
	v_dot2c_f32_f16_e32 v54, v113, v118
	v_dot2c_f32_f16_e32 v55, v113, v119
	v_dot2c_f32_f16_e32 v52, v113, v120
	v_dot2c_f32_f16_e32 v53, v113, v121
	;; [unrolled: 17-line block ×3, first 2 shown]
	v_dot2c_f32_f16_e32 v22, v122, v118
	v_dot2c_f32_f16_e32 v23, v122, v119
	;; [unrolled: 1-line block ×16, first 2 shown]
	ds_read_b128 v[110:113], v86 offset:11776
	ds_read_b128 v[114:117], v87 offset:28160
	;; [unrolled: 1-line block ×4, first 2 shown]
	s_waitcnt lgkmcnt(2)
	v_dot2c_f32_f16_e32 v78, v110, v114
	v_dot2c_f32_f16_e32 v79, v110, v115
	v_dot2c_f32_f16_e32 v76, v110, v116
	v_dot2c_f32_f16_e32 v77, v110, v117
	v_dot2c_f32_f16_e32 v66, v111, v114
	v_dot2c_f32_f16_e32 v67, v111, v115
	v_dot2c_f32_f16_e32 v64, v111, v116
	v_dot2c_f32_f16_e32 v65, v111, v117
	v_dot2c_f32_f16_e32 v62, v112, v114
	v_dot2c_f32_f16_e32 v63, v112, v115
	v_dot2c_f32_f16_e32 v60, v112, v116
	v_dot2c_f32_f16_e32 v61, v112, v117
	v_dot2c_f32_f16_e32 v50, v113, v114
	v_dot2c_f32_f16_e32 v51, v113, v115
	v_dot2c_f32_f16_e32 v48, v113, v116
	v_dot2c_f32_f16_e32 v49, v113, v117
	s_waitcnt lgkmcnt(1)
	v_dot2c_f32_f16_e32 v74, v110, v118
	v_dot2c_f32_f16_e32 v75, v110, v119
	v_dot2c_f32_f16_e32 v72, v110, v120
	v_dot2c_f32_f16_e32 v73, v110, v121
	v_dot2c_f32_f16_e32 v70, v111, v118
	v_dot2c_f32_f16_e32 v71, v111, v119
	v_dot2c_f32_f16_e32 v68, v111, v120
	v_dot2c_f32_f16_e32 v69, v111, v121
	v_dot2c_f32_f16_e32 v58, v112, v118
	v_dot2c_f32_f16_e32 v59, v112, v119
	v_dot2c_f32_f16_e32 v56, v112, v120
	v_dot2c_f32_f16_e32 v57, v112, v121
	v_dot2c_f32_f16_e32 v54, v113, v118
	v_dot2c_f32_f16_e32 v55, v113, v119
	v_dot2c_f32_f16_e32 v52, v113, v120
	v_dot2c_f32_f16_e32 v53, v113, v121
	;; [unrolled: 17-line block ×3, first 2 shown]
	v_dot2c_f32_f16_e32 v22, v122, v118
	v_dot2c_f32_f16_e32 v23, v122, v119
	;; [unrolled: 1-line block ×16, first 2 shown]
	ds_read_b128 v[110:113], v86 offset:12288
	ds_read_b128 v[114:117], v87 offset:28672
	;; [unrolled: 1-line block ×4, first 2 shown]
	s_waitcnt lgkmcnt(2)
	v_dot2c_f32_f16_e32 v78, v110, v114
	v_dot2c_f32_f16_e32 v79, v110, v115
	v_dot2c_f32_f16_e32 v76, v110, v116
	v_dot2c_f32_f16_e32 v77, v110, v117
	v_dot2c_f32_f16_e32 v66, v111, v114
	v_dot2c_f32_f16_e32 v67, v111, v115
	v_dot2c_f32_f16_e32 v64, v111, v116
	v_dot2c_f32_f16_e32 v65, v111, v117
	v_dot2c_f32_f16_e32 v62, v112, v114
	v_dot2c_f32_f16_e32 v63, v112, v115
	v_dot2c_f32_f16_e32 v60, v112, v116
	v_dot2c_f32_f16_e32 v61, v112, v117
	v_dot2c_f32_f16_e32 v50, v113, v114
	v_dot2c_f32_f16_e32 v51, v113, v115
	v_dot2c_f32_f16_e32 v48, v113, v116
	v_dot2c_f32_f16_e32 v49, v113, v117
	s_waitcnt lgkmcnt(1)
	v_dot2c_f32_f16_e32 v74, v110, v118
	v_dot2c_f32_f16_e32 v75, v110, v119
	v_dot2c_f32_f16_e32 v72, v110, v120
	v_dot2c_f32_f16_e32 v73, v110, v121
	v_dot2c_f32_f16_e32 v70, v111, v118
	v_dot2c_f32_f16_e32 v71, v111, v119
	v_dot2c_f32_f16_e32 v68, v111, v120
	v_dot2c_f32_f16_e32 v69, v111, v121
	v_dot2c_f32_f16_e32 v58, v112, v118
	v_dot2c_f32_f16_e32 v59, v112, v119
	v_dot2c_f32_f16_e32 v56, v112, v120
	v_dot2c_f32_f16_e32 v57, v112, v121
	v_dot2c_f32_f16_e32 v54, v113, v118
	v_dot2c_f32_f16_e32 v55, v113, v119
	v_dot2c_f32_f16_e32 v52, v113, v120
	v_dot2c_f32_f16_e32 v53, v113, v121
	s_waitcnt lgkmcnt(0)
	v_dot2c_f32_f16_e32 v18, v122, v114
	v_dot2c_f32_f16_e32 v19, v122, v115
	v_dot2c_f32_f16_e32 v16, v122, v116
	v_dot2c_f32_f16_e32 v17, v122, v117
	v_dot2c_f32_f16_e32 v30, v123, v114
	v_dot2c_f32_f16_e32 v31, v123, v115
	v_dot2c_f32_f16_e32 v28, v123, v116
	v_dot2c_f32_f16_e32 v29, v123, v117
	v_dot2c_f32_f16_e32 v34, v124, v114
	v_dot2c_f32_f16_e32 v35, v124, v115
	v_dot2c_f32_f16_e32 v32, v124, v116
	v_dot2c_f32_f16_e32 v33, v124, v117
	v_dot2c_f32_f16_e32 v40, v125, v114
	v_dot2c_f32_f16_e32 v41, v125, v115
	v_dot2c_f32_f16_e32 v46, v125, v116
	v_dot2c_f32_f16_e32 v47, v125, v117
	v_dot2c_f32_f16_e32 v22, v122, v118
	v_dot2c_f32_f16_e32 v23, v122, v119
	;; [unrolled: 1-line block ×16, first 2 shown]
	ds_read_b128 v[110:113], v86 offset:12800
	ds_read_b128 v[114:117], v87 offset:29184
	;; [unrolled: 1-line block ×4, first 2 shown]
	s_waitcnt lgkmcnt(2)
	v_dot2c_f32_f16_e32 v78, v110, v114
	v_dot2c_f32_f16_e32 v79, v110, v115
	v_dot2c_f32_f16_e32 v76, v110, v116
	v_dot2c_f32_f16_e32 v77, v110, v117
	v_dot2c_f32_f16_e32 v66, v111, v114
	v_dot2c_f32_f16_e32 v67, v111, v115
	v_dot2c_f32_f16_e32 v64, v111, v116
	v_dot2c_f32_f16_e32 v65, v111, v117
	v_dot2c_f32_f16_e32 v62, v112, v114
	v_dot2c_f32_f16_e32 v63, v112, v115
	v_dot2c_f32_f16_e32 v60, v112, v116
	v_dot2c_f32_f16_e32 v61, v112, v117
	v_dot2c_f32_f16_e32 v50, v113, v114
	v_dot2c_f32_f16_e32 v51, v113, v115
	v_dot2c_f32_f16_e32 v48, v113, v116
	v_dot2c_f32_f16_e32 v49, v113, v117
	s_waitcnt lgkmcnt(1)
	v_dot2c_f32_f16_e32 v74, v110, v118
	v_dot2c_f32_f16_e32 v75, v110, v119
	v_dot2c_f32_f16_e32 v72, v110, v120
	v_dot2c_f32_f16_e32 v73, v110, v121
	v_dot2c_f32_f16_e32 v70, v111, v118
	v_dot2c_f32_f16_e32 v71, v111, v119
	v_dot2c_f32_f16_e32 v68, v111, v120
	v_dot2c_f32_f16_e32 v69, v111, v121
	v_dot2c_f32_f16_e32 v58, v112, v118
	v_dot2c_f32_f16_e32 v59, v112, v119
	v_dot2c_f32_f16_e32 v56, v112, v120
	v_dot2c_f32_f16_e32 v57, v112, v121
	v_dot2c_f32_f16_e32 v54, v113, v118
	v_dot2c_f32_f16_e32 v55, v113, v119
	v_dot2c_f32_f16_e32 v52, v113, v120
	v_dot2c_f32_f16_e32 v53, v113, v121
	;; [unrolled: 17-line block ×3, first 2 shown]
	v_dot2c_f32_f16_e32 v22, v122, v118
	v_dot2c_f32_f16_e32 v23, v122, v119
	;; [unrolled: 1-line block ×16, first 2 shown]
	ds_read_b128 v[110:113], v86 offset:13312
	ds_read_b128 v[114:117], v87 offset:29696
	;; [unrolled: 1-line block ×4, first 2 shown]
	s_waitcnt lgkmcnt(2)
	v_dot2c_f32_f16_e32 v78, v110, v114
	v_dot2c_f32_f16_e32 v79, v110, v115
	v_dot2c_f32_f16_e32 v76, v110, v116
	v_dot2c_f32_f16_e32 v77, v110, v117
	v_dot2c_f32_f16_e32 v66, v111, v114
	v_dot2c_f32_f16_e32 v67, v111, v115
	v_dot2c_f32_f16_e32 v64, v111, v116
	v_dot2c_f32_f16_e32 v65, v111, v117
	v_dot2c_f32_f16_e32 v62, v112, v114
	v_dot2c_f32_f16_e32 v63, v112, v115
	v_dot2c_f32_f16_e32 v60, v112, v116
	v_dot2c_f32_f16_e32 v61, v112, v117
	v_dot2c_f32_f16_e32 v50, v113, v114
	v_dot2c_f32_f16_e32 v51, v113, v115
	v_dot2c_f32_f16_e32 v48, v113, v116
	v_dot2c_f32_f16_e32 v49, v113, v117
	s_waitcnt lgkmcnt(1)
	v_dot2c_f32_f16_e32 v74, v110, v118
	v_dot2c_f32_f16_e32 v75, v110, v119
	v_dot2c_f32_f16_e32 v72, v110, v120
	v_dot2c_f32_f16_e32 v73, v110, v121
	v_dot2c_f32_f16_e32 v70, v111, v118
	v_dot2c_f32_f16_e32 v71, v111, v119
	v_dot2c_f32_f16_e32 v68, v111, v120
	v_dot2c_f32_f16_e32 v69, v111, v121
	v_dot2c_f32_f16_e32 v58, v112, v118
	v_dot2c_f32_f16_e32 v59, v112, v119
	v_dot2c_f32_f16_e32 v56, v112, v120
	v_dot2c_f32_f16_e32 v57, v112, v121
	v_dot2c_f32_f16_e32 v54, v113, v118
	v_dot2c_f32_f16_e32 v55, v113, v119
	v_dot2c_f32_f16_e32 v52, v113, v120
	v_dot2c_f32_f16_e32 v53, v113, v121
	;; [unrolled: 17-line block ×3, first 2 shown]
	v_dot2c_f32_f16_e32 v22, v122, v118
	v_dot2c_f32_f16_e32 v23, v122, v119
	;; [unrolled: 1-line block ×16, first 2 shown]
	ds_read_b128 v[110:113], v86 offset:13824
	ds_read_b128 v[114:117], v87 offset:30208
	;; [unrolled: 1-line block ×4, first 2 shown]
	s_waitcnt lgkmcnt(2)
	v_dot2c_f32_f16_e32 v78, v110, v114
	v_dot2c_f32_f16_e32 v79, v110, v115
	v_dot2c_f32_f16_e32 v76, v110, v116
	v_dot2c_f32_f16_e32 v77, v110, v117
	v_dot2c_f32_f16_e32 v66, v111, v114
	v_dot2c_f32_f16_e32 v67, v111, v115
	v_dot2c_f32_f16_e32 v64, v111, v116
	v_dot2c_f32_f16_e32 v65, v111, v117
	v_dot2c_f32_f16_e32 v62, v112, v114
	v_dot2c_f32_f16_e32 v63, v112, v115
	v_dot2c_f32_f16_e32 v60, v112, v116
	v_dot2c_f32_f16_e32 v61, v112, v117
	v_dot2c_f32_f16_e32 v50, v113, v114
	v_dot2c_f32_f16_e32 v51, v113, v115
	v_dot2c_f32_f16_e32 v48, v113, v116
	v_dot2c_f32_f16_e32 v49, v113, v117
	s_waitcnt lgkmcnt(1)
	v_dot2c_f32_f16_e32 v74, v110, v118
	v_dot2c_f32_f16_e32 v75, v110, v119
	v_dot2c_f32_f16_e32 v72, v110, v120
	v_dot2c_f32_f16_e32 v73, v110, v121
	v_dot2c_f32_f16_e32 v70, v111, v118
	v_dot2c_f32_f16_e32 v71, v111, v119
	v_dot2c_f32_f16_e32 v68, v111, v120
	v_dot2c_f32_f16_e32 v69, v111, v121
	v_dot2c_f32_f16_e32 v58, v112, v118
	v_dot2c_f32_f16_e32 v59, v112, v119
	v_dot2c_f32_f16_e32 v56, v112, v120
	v_dot2c_f32_f16_e32 v57, v112, v121
	v_dot2c_f32_f16_e32 v54, v113, v118
	v_dot2c_f32_f16_e32 v55, v113, v119
	v_dot2c_f32_f16_e32 v52, v113, v120
	v_dot2c_f32_f16_e32 v53, v113, v121
	;; [unrolled: 17-line block ×3, first 2 shown]
	v_dot2c_f32_f16_e32 v22, v122, v118
	v_dot2c_f32_f16_e32 v23, v122, v119
	;; [unrolled: 1-line block ×16, first 2 shown]
	ds_read_b128 v[110:113], v86 offset:14336
	ds_read_b128 v[114:117], v87 offset:30720
	;; [unrolled: 1-line block ×4, first 2 shown]
	s_waitcnt lgkmcnt(2)
	v_dot2c_f32_f16_e32 v78, v110, v114
	v_dot2c_f32_f16_e32 v79, v110, v115
	v_dot2c_f32_f16_e32 v76, v110, v116
	v_dot2c_f32_f16_e32 v77, v110, v117
	v_dot2c_f32_f16_e32 v66, v111, v114
	v_dot2c_f32_f16_e32 v67, v111, v115
	v_dot2c_f32_f16_e32 v64, v111, v116
	v_dot2c_f32_f16_e32 v65, v111, v117
	v_dot2c_f32_f16_e32 v62, v112, v114
	v_dot2c_f32_f16_e32 v63, v112, v115
	v_dot2c_f32_f16_e32 v60, v112, v116
	v_dot2c_f32_f16_e32 v61, v112, v117
	v_dot2c_f32_f16_e32 v50, v113, v114
	v_dot2c_f32_f16_e32 v51, v113, v115
	v_dot2c_f32_f16_e32 v48, v113, v116
	v_dot2c_f32_f16_e32 v49, v113, v117
	s_waitcnt lgkmcnt(1)
	v_dot2c_f32_f16_e32 v74, v110, v118
	v_dot2c_f32_f16_e32 v75, v110, v119
	v_dot2c_f32_f16_e32 v72, v110, v120
	v_dot2c_f32_f16_e32 v73, v110, v121
	v_dot2c_f32_f16_e32 v70, v111, v118
	v_dot2c_f32_f16_e32 v71, v111, v119
	v_dot2c_f32_f16_e32 v68, v111, v120
	v_dot2c_f32_f16_e32 v69, v111, v121
	v_dot2c_f32_f16_e32 v58, v112, v118
	v_dot2c_f32_f16_e32 v59, v112, v119
	v_dot2c_f32_f16_e32 v56, v112, v120
	v_dot2c_f32_f16_e32 v57, v112, v121
	v_dot2c_f32_f16_e32 v54, v113, v118
	v_dot2c_f32_f16_e32 v55, v113, v119
	v_dot2c_f32_f16_e32 v52, v113, v120
	v_dot2c_f32_f16_e32 v53, v113, v121
	;; [unrolled: 17-line block ×3, first 2 shown]
	v_dot2c_f32_f16_e32 v22, v122, v118
	v_dot2c_f32_f16_e32 v23, v122, v119
	;; [unrolled: 1-line block ×16, first 2 shown]
	ds_read_b128 v[110:113], v86 offset:14848
	ds_read_b128 v[114:117], v87 offset:31232
	;; [unrolled: 1-line block ×4, first 2 shown]
	s_waitcnt lgkmcnt(2)
	v_dot2c_f32_f16_e32 v78, v110, v114
	v_dot2c_f32_f16_e32 v79, v110, v115
	v_dot2c_f32_f16_e32 v76, v110, v116
	v_dot2c_f32_f16_e32 v77, v110, v117
	v_dot2c_f32_f16_e32 v66, v111, v114
	v_dot2c_f32_f16_e32 v67, v111, v115
	v_dot2c_f32_f16_e32 v64, v111, v116
	v_dot2c_f32_f16_e32 v65, v111, v117
	v_dot2c_f32_f16_e32 v62, v112, v114
	v_dot2c_f32_f16_e32 v63, v112, v115
	v_dot2c_f32_f16_e32 v60, v112, v116
	v_dot2c_f32_f16_e32 v61, v112, v117
	v_dot2c_f32_f16_e32 v50, v113, v114
	v_dot2c_f32_f16_e32 v51, v113, v115
	v_dot2c_f32_f16_e32 v48, v113, v116
	v_dot2c_f32_f16_e32 v49, v113, v117
	s_waitcnt lgkmcnt(1)
	v_dot2c_f32_f16_e32 v74, v110, v118
	v_dot2c_f32_f16_e32 v75, v110, v119
	v_dot2c_f32_f16_e32 v72, v110, v120
	v_dot2c_f32_f16_e32 v73, v110, v121
	v_dot2c_f32_f16_e32 v70, v111, v118
	v_dot2c_f32_f16_e32 v71, v111, v119
	v_dot2c_f32_f16_e32 v68, v111, v120
	v_dot2c_f32_f16_e32 v69, v111, v121
	v_dot2c_f32_f16_e32 v58, v112, v118
	v_dot2c_f32_f16_e32 v59, v112, v119
	v_dot2c_f32_f16_e32 v56, v112, v120
	v_dot2c_f32_f16_e32 v57, v112, v121
	v_dot2c_f32_f16_e32 v54, v113, v118
	v_dot2c_f32_f16_e32 v55, v113, v119
	v_dot2c_f32_f16_e32 v52, v113, v120
	v_dot2c_f32_f16_e32 v53, v113, v121
	;; [unrolled: 17-line block ×3, first 2 shown]
	v_dot2c_f32_f16_e32 v22, v122, v118
	v_dot2c_f32_f16_e32 v23, v122, v119
	;; [unrolled: 1-line block ×16, first 2 shown]
	ds_read_b128 v[110:113], v86 offset:15360
	ds_read_b128 v[114:117], v87 offset:31744
	ds_read_b128 v[118:121], v87 offset:32000
	ds_read_b128 v[122:125], v86 offset:15616
	s_waitcnt lgkmcnt(2)
	v_dot2c_f32_f16_e32 v78, v110, v114
	v_dot2c_f32_f16_e32 v79, v110, v115
	v_dot2c_f32_f16_e32 v76, v110, v116
	v_dot2c_f32_f16_e32 v77, v110, v117
	v_dot2c_f32_f16_e32 v66, v111, v114
	v_dot2c_f32_f16_e32 v67, v111, v115
	v_dot2c_f32_f16_e32 v64, v111, v116
	v_dot2c_f32_f16_e32 v65, v111, v117
	v_dot2c_f32_f16_e32 v62, v112, v114
	v_dot2c_f32_f16_e32 v63, v112, v115
	v_dot2c_f32_f16_e32 v60, v112, v116
	v_dot2c_f32_f16_e32 v61, v112, v117
	v_dot2c_f32_f16_e32 v50, v113, v114
	v_dot2c_f32_f16_e32 v51, v113, v115
	v_dot2c_f32_f16_e32 v48, v113, v116
	v_dot2c_f32_f16_e32 v49, v113, v117
	s_waitcnt lgkmcnt(1)
	v_dot2c_f32_f16_e32 v74, v110, v118
	v_dot2c_f32_f16_e32 v75, v110, v119
	v_dot2c_f32_f16_e32 v72, v110, v120
	v_dot2c_f32_f16_e32 v73, v110, v121
	v_dot2c_f32_f16_e32 v70, v111, v118
	v_dot2c_f32_f16_e32 v71, v111, v119
	v_dot2c_f32_f16_e32 v68, v111, v120
	v_dot2c_f32_f16_e32 v69, v111, v121
	v_dot2c_f32_f16_e32 v58, v112, v118
	v_dot2c_f32_f16_e32 v59, v112, v119
	v_dot2c_f32_f16_e32 v56, v112, v120
	v_dot2c_f32_f16_e32 v57, v112, v121
	v_dot2c_f32_f16_e32 v54, v113, v118
	v_dot2c_f32_f16_e32 v55, v113, v119
	v_dot2c_f32_f16_e32 v52, v113, v120
	v_dot2c_f32_f16_e32 v53, v113, v121
	;; [unrolled: 17-line block ×3, first 2 shown]
	v_dot2c_f32_f16_e32 v22, v122, v118
	v_dot2c_f32_f16_e32 v23, v122, v119
	;; [unrolled: 1-line block ×16, first 2 shown]
	ds_read_b128 v[110:113], v86 offset:15872
	ds_read_b128 v[114:117], v87 offset:32256
	;; [unrolled: 1-line block ×4, first 2 shown]
	s_waitcnt lgkmcnt(2)
	v_dot2c_f32_f16_e32 v78, v110, v114
	v_dot2c_f32_f16_e32 v79, v110, v115
	;; [unrolled: 1-line block ×4, first 2 shown]
	s_waitcnt lgkmcnt(1)
	v_dot2c_f32_f16_e32 v74, v110, v118
	v_dot2c_f32_f16_e32 v75, v110, v119
	;; [unrolled: 1-line block ×4, first 2 shown]
	v_add_u32_e32 v110, s58, v91
	v_cmp_gt_i32_e64 s[4:5], s52, v110
	s_and_b64 s[4:5], s[2:3], s[4:5]
	v_add_u32_e32 v110, s58, v90
	s_waitcnt vmcnt(3)
	v_cndmask_b32_e64 v15, 0, v15, s[4:5]
	v_cndmask_b32_e64 v14, 0, v14, s[4:5]
	;; [unrolled: 1-line block ×4, first 2 shown]
	v_cmp_gt_i32_e64 s[4:5], s52, v110
	s_and_b64 s[4:5], s[2:3], s[4:5]
	s_add_i32 s58, s58, s18
	s_waitcnt vmcnt(2)
	v_cndmask_b32_e64 v11, 0, v11, s[4:5]
	v_cndmask_b32_e64 v10, 0, v10, s[4:5]
	;; [unrolled: 1-line block ×4, first 2 shown]
	v_cmp_gt_i32_e64 s[4:5], s53, v80
	v_add_u32_e32 v80, v109, v108
	v_cmp_gt_i32_e64 s[8:9], s16, v80
	v_cmp_le_i32_e64 s[6:7], s46, v80
	s_and_b64 s[4:5], s[8:9], s[4:5]
	s_and_b64 s[4:5], s[4:5], s[6:7]
	s_and_b64 s[4:5], vcc, s[4:5]
	v_add_u32_e32 v107, v107, v80
	s_waitcnt vmcnt(1)
	v_cndmask_b32_e64 v7, 0, v7, s[4:5]
	v_cndmask_b32_e64 v6, 0, v6, s[4:5]
	;; [unrolled: 1-line block ×4, first 2 shown]
	v_cmp_gt_i32_e64 s[4:5], s53, v82
	v_cmp_gt_i32_e64 s[8:9], s16, v107
	v_cmp_le_i32_e64 s[6:7], s46, v107
	s_and_b64 s[4:5], s[8:9], s[4:5]
	s_and_b64 s[4:5], s[4:5], s[6:7]
	s_and_b64 s[4:5], vcc, s[4:5]
	s_waitcnt vmcnt(0)
	v_cndmask_b32_e64 v3, 0, v3, s[4:5]
	v_cndmask_b32_e64 v2, 0, v2, s[4:5]
	;; [unrolled: 1-line block ×4, first 2 shown]
	s_add_i32 s4, s57, s57
	ds_write2st64_b32 v89, v12, v13 offset0:64 offset1:66
	ds_write2st64_b32 v89, v14, v15 offset0:68 offset1:70
	;; [unrolled: 1-line block ×4, first 2 shown]
	ds_write2st64_b32 v89, v4, v5 offset1:2
	ds_write2st64_b32 v89, v6, v7 offset0:4 offset1:6
	v_add_u32_e32 v88, s4, v88
	ds_write2st64_b32 v89, v0, v1 offset0:8 offset1:10
	v_mul_lo_u32 v0, v83, s47
	v_dot2c_f32_f16_e32 v66, v111, v114
	v_dot2c_f32_f16_e32 v67, v111, v115
	;; [unrolled: 1-line block ×24, first 2 shown]
	s_waitcnt lgkmcnt(7)
	v_dot2c_f32_f16_e32 v18, v122, v114
	v_dot2c_f32_f16_e32 v19, v122, v115
	;; [unrolled: 1-line block ×32, first 2 shown]
	v_sub_u32_e32 v1, v88, v0
	s_cmp_lt_i32 s59, s10
	ds_write2st64_b32 v89, v2, v3 offset0:12 offset1:14
	s_cbranch_scc1 .LBB2_1
; %bb.2:
	s_waitcnt lgkmcnt(0)
	s_barrier
	ds_read_b128 v[0:3], v86
	ds_read_b128 v[4:7], v87 offset:16384
	ds_read_b128 v[8:11], v87 offset:16640
	;; [unrolled: 1-line block ×3, first 2 shown]
	s_mul_i32 s2, s26, s51
	s_mul_hi_u32 s3, s26, s50
	s_add_i32 s2, s3, s2
	s_waitcnt lgkmcnt(2)
	v_dot2c_f32_f16_e32 v78, v0, v4
	v_dot2c_f32_f16_e32 v79, v0, v5
	;; [unrolled: 1-line block ×16, first 2 shown]
	s_waitcnt lgkmcnt(1)
	v_dot2c_f32_f16_e32 v74, v0, v8
	v_dot2c_f32_f16_e32 v75, v0, v9
	;; [unrolled: 1-line block ×16, first 2 shown]
	ds_read_b128 v[0:3], v86 offset:512
	s_waitcnt lgkmcnt(1)
	v_dot2c_f32_f16_e32 v18, v12, v4
	v_dot2c_f32_f16_e32 v19, v12, v5
	;; [unrolled: 1-line block ×16, first 2 shown]
	ds_read_b128 v[4:7], v87 offset:16896
	v_dot2c_f32_f16_e32 v22, v12, v8
	v_dot2c_f32_f16_e32 v23, v12, v9
	;; [unrolled: 1-line block ×16, first 2 shown]
	ds_read_b128 v[8:11], v87 offset:17152
	ds_read_b128 v[12:15], v86 offset:768
	s_waitcnt lgkmcnt(2)
	v_dot2c_f32_f16_e32 v78, v0, v4
	v_dot2c_f32_f16_e32 v79, v0, v5
	;; [unrolled: 1-line block ×16, first 2 shown]
	s_waitcnt lgkmcnt(1)
	v_dot2c_f32_f16_e32 v74, v0, v8
	v_dot2c_f32_f16_e32 v75, v0, v9
	;; [unrolled: 1-line block ×16, first 2 shown]
	ds_read_b128 v[0:3], v86 offset:1024
	s_waitcnt lgkmcnt(1)
	v_dot2c_f32_f16_e32 v18, v12, v4
	v_dot2c_f32_f16_e32 v19, v12, v5
	;; [unrolled: 1-line block ×16, first 2 shown]
	ds_read_b128 v[4:7], v87 offset:17408
	v_dot2c_f32_f16_e32 v22, v12, v8
	v_dot2c_f32_f16_e32 v23, v12, v9
	;; [unrolled: 1-line block ×16, first 2 shown]
	ds_read_b128 v[8:11], v87 offset:17664
	ds_read_b128 v[12:15], v86 offset:1280
	s_waitcnt lgkmcnt(2)
	v_dot2c_f32_f16_e32 v78, v0, v4
	v_dot2c_f32_f16_e32 v79, v0, v5
	;; [unrolled: 1-line block ×16, first 2 shown]
	s_waitcnt lgkmcnt(1)
	v_dot2c_f32_f16_e32 v74, v0, v8
	v_dot2c_f32_f16_e32 v75, v0, v9
	;; [unrolled: 1-line block ×16, first 2 shown]
	ds_read_b128 v[0:3], v86 offset:1536
	s_waitcnt lgkmcnt(1)
	v_dot2c_f32_f16_e32 v18, v12, v4
	v_dot2c_f32_f16_e32 v19, v12, v5
	;; [unrolled: 1-line block ×16, first 2 shown]
	ds_read_b128 v[4:7], v87 offset:17920
	v_dot2c_f32_f16_e32 v22, v12, v8
	v_dot2c_f32_f16_e32 v23, v12, v9
	;; [unrolled: 1-line block ×16, first 2 shown]
	ds_read_b128 v[8:11], v87 offset:18176
	ds_read_b128 v[12:15], v86 offset:1792
	s_waitcnt lgkmcnt(2)
	v_dot2c_f32_f16_e32 v78, v0, v4
	v_dot2c_f32_f16_e32 v79, v0, v5
	;; [unrolled: 1-line block ×16, first 2 shown]
	s_waitcnt lgkmcnt(1)
	v_dot2c_f32_f16_e32 v74, v0, v8
	v_dot2c_f32_f16_e32 v75, v0, v9
	;; [unrolled: 1-line block ×16, first 2 shown]
	ds_read_b128 v[0:3], v86 offset:2048
	s_waitcnt lgkmcnt(1)
	v_dot2c_f32_f16_e32 v18, v12, v4
	v_dot2c_f32_f16_e32 v19, v12, v5
	;; [unrolled: 1-line block ×16, first 2 shown]
	ds_read_b128 v[4:7], v87 offset:18432
	v_dot2c_f32_f16_e32 v22, v12, v8
	v_dot2c_f32_f16_e32 v23, v12, v9
	v_dot2c_f32_f16_e32 v20, v12, v10
	v_dot2c_f32_f16_e32 v21, v12, v11
	v_dot2c_f32_f16_e32 v26, v13, v8
	v_dot2c_f32_f16_e32 v27, v13, v9
	v_dot2c_f32_f16_e32 v24, v13, v10
	v_dot2c_f32_f16_e32 v25, v13, v11
	v_dot2c_f32_f16_e32 v38, v14, v8
	v_dot2c_f32_f16_e32 v39, v14, v9
	v_dot2c_f32_f16_e32 v36, v14, v10
	v_dot2c_f32_f16_e32 v37, v14, v11
	v_dot2c_f32_f16_e32 v44, v15, v8
	v_dot2c_f32_f16_e32 v45, v15, v9
	v_dot2c_f32_f16_e32 v42, v15, v10
	v_dot2c_f32_f16_e32 v43, v15, v11
	ds_read_b128 v[8:11], v87 offset:18688
	ds_read_b128 v[12:15], v86 offset:2304
	s_waitcnt lgkmcnt(2)
	v_dot2c_f32_f16_e32 v78, v0, v4
	v_dot2c_f32_f16_e32 v79, v0, v5
	;; [unrolled: 1-line block ×16, first 2 shown]
	s_waitcnt lgkmcnt(1)
	v_dot2c_f32_f16_e32 v74, v0, v8
	v_dot2c_f32_f16_e32 v75, v0, v9
	;; [unrolled: 1-line block ×16, first 2 shown]
	ds_read_b128 v[0:3], v86 offset:2560
	s_waitcnt lgkmcnt(1)
	v_dot2c_f32_f16_e32 v18, v12, v4
	v_dot2c_f32_f16_e32 v19, v12, v5
	;; [unrolled: 1-line block ×16, first 2 shown]
	ds_read_b128 v[4:7], v87 offset:18944
	v_dot2c_f32_f16_e32 v22, v12, v8
	v_dot2c_f32_f16_e32 v23, v12, v9
	;; [unrolled: 1-line block ×16, first 2 shown]
	ds_read_b128 v[8:11], v87 offset:19200
	ds_read_b128 v[12:15], v86 offset:2816
	s_waitcnt lgkmcnt(2)
	v_dot2c_f32_f16_e32 v78, v0, v4
	v_dot2c_f32_f16_e32 v79, v0, v5
	;; [unrolled: 1-line block ×16, first 2 shown]
	s_waitcnt lgkmcnt(1)
	v_dot2c_f32_f16_e32 v74, v0, v8
	v_dot2c_f32_f16_e32 v75, v0, v9
	;; [unrolled: 1-line block ×16, first 2 shown]
	ds_read_b128 v[0:3], v86 offset:3072
	s_waitcnt lgkmcnt(1)
	v_dot2c_f32_f16_e32 v18, v12, v4
	v_dot2c_f32_f16_e32 v19, v12, v5
	;; [unrolled: 1-line block ×16, first 2 shown]
	ds_read_b128 v[4:7], v87 offset:19456
	v_dot2c_f32_f16_e32 v22, v12, v8
	v_dot2c_f32_f16_e32 v23, v12, v9
	;; [unrolled: 1-line block ×16, first 2 shown]
	ds_read_b128 v[8:11], v87 offset:19712
	ds_read_b128 v[12:15], v86 offset:3328
	s_waitcnt lgkmcnt(2)
	v_dot2c_f32_f16_e32 v78, v0, v4
	v_dot2c_f32_f16_e32 v79, v0, v5
	;; [unrolled: 1-line block ×16, first 2 shown]
	s_waitcnt lgkmcnt(1)
	v_dot2c_f32_f16_e32 v74, v0, v8
	v_dot2c_f32_f16_e32 v75, v0, v9
	;; [unrolled: 1-line block ×16, first 2 shown]
	ds_read_b128 v[0:3], v86 offset:3584
	s_waitcnt lgkmcnt(1)
	v_dot2c_f32_f16_e32 v18, v12, v4
	v_dot2c_f32_f16_e32 v19, v12, v5
	;; [unrolled: 1-line block ×16, first 2 shown]
	ds_read_b128 v[4:7], v87 offset:19968
	v_dot2c_f32_f16_e32 v22, v12, v8
	v_dot2c_f32_f16_e32 v23, v12, v9
	;; [unrolled: 1-line block ×16, first 2 shown]
	ds_read_b128 v[8:11], v87 offset:20224
	ds_read_b128 v[12:15], v86 offset:3840
	s_waitcnt lgkmcnt(2)
	v_dot2c_f32_f16_e32 v78, v0, v4
	v_dot2c_f32_f16_e32 v79, v0, v5
	;; [unrolled: 1-line block ×16, first 2 shown]
	s_waitcnt lgkmcnt(1)
	v_dot2c_f32_f16_e32 v74, v0, v8
	v_dot2c_f32_f16_e32 v75, v0, v9
	;; [unrolled: 1-line block ×16, first 2 shown]
	ds_read_b128 v[0:3], v86 offset:4096
	s_waitcnt lgkmcnt(1)
	v_dot2c_f32_f16_e32 v18, v12, v4
	v_dot2c_f32_f16_e32 v19, v12, v5
	;; [unrolled: 1-line block ×16, first 2 shown]
	ds_read_b128 v[4:7], v87 offset:20480
	v_dot2c_f32_f16_e32 v22, v12, v8
	v_dot2c_f32_f16_e32 v23, v12, v9
	;; [unrolled: 1-line block ×16, first 2 shown]
	ds_read_b128 v[8:11], v87 offset:20736
	ds_read_b128 v[12:15], v86 offset:4352
	s_waitcnt lgkmcnt(2)
	v_dot2c_f32_f16_e32 v78, v0, v4
	v_dot2c_f32_f16_e32 v79, v0, v5
	;; [unrolled: 1-line block ×16, first 2 shown]
	s_waitcnt lgkmcnt(1)
	v_dot2c_f32_f16_e32 v74, v0, v8
	v_dot2c_f32_f16_e32 v75, v0, v9
	;; [unrolled: 1-line block ×16, first 2 shown]
	ds_read_b128 v[0:3], v86 offset:4608
	s_waitcnt lgkmcnt(1)
	v_dot2c_f32_f16_e32 v18, v12, v4
	v_dot2c_f32_f16_e32 v19, v12, v5
	;; [unrolled: 1-line block ×16, first 2 shown]
	ds_read_b128 v[4:7], v87 offset:20992
	v_dot2c_f32_f16_e32 v22, v12, v8
	v_dot2c_f32_f16_e32 v23, v12, v9
	;; [unrolled: 1-line block ×16, first 2 shown]
	ds_read_b128 v[8:11], v87 offset:21248
	ds_read_b128 v[12:15], v86 offset:4864
	s_waitcnt lgkmcnt(2)
	v_dot2c_f32_f16_e32 v78, v0, v4
	v_dot2c_f32_f16_e32 v79, v0, v5
	;; [unrolled: 1-line block ×16, first 2 shown]
	s_waitcnt lgkmcnt(1)
	v_dot2c_f32_f16_e32 v74, v0, v8
	v_dot2c_f32_f16_e32 v75, v0, v9
	;; [unrolled: 1-line block ×16, first 2 shown]
	ds_read_b128 v[0:3], v86 offset:5120
	s_waitcnt lgkmcnt(1)
	v_dot2c_f32_f16_e32 v18, v12, v4
	v_dot2c_f32_f16_e32 v19, v12, v5
	;; [unrolled: 1-line block ×16, first 2 shown]
	ds_read_b128 v[4:7], v87 offset:21504
	v_dot2c_f32_f16_e32 v22, v12, v8
	v_dot2c_f32_f16_e32 v23, v12, v9
	;; [unrolled: 1-line block ×16, first 2 shown]
	ds_read_b128 v[8:11], v87 offset:21760
	ds_read_b128 v[12:15], v86 offset:5376
	s_waitcnt lgkmcnt(2)
	v_dot2c_f32_f16_e32 v78, v0, v4
	v_dot2c_f32_f16_e32 v79, v0, v5
	;; [unrolled: 1-line block ×16, first 2 shown]
	s_waitcnt lgkmcnt(1)
	v_dot2c_f32_f16_e32 v74, v0, v8
	v_dot2c_f32_f16_e32 v75, v0, v9
	;; [unrolled: 1-line block ×16, first 2 shown]
	ds_read_b128 v[0:3], v86 offset:5632
	s_waitcnt lgkmcnt(1)
	v_dot2c_f32_f16_e32 v18, v12, v4
	v_dot2c_f32_f16_e32 v19, v12, v5
	;; [unrolled: 1-line block ×16, first 2 shown]
	ds_read_b128 v[4:7], v87 offset:22016
	v_dot2c_f32_f16_e32 v22, v12, v8
	v_dot2c_f32_f16_e32 v23, v12, v9
	;; [unrolled: 1-line block ×16, first 2 shown]
	ds_read_b128 v[8:11], v87 offset:22272
	ds_read_b128 v[12:15], v86 offset:5888
	s_waitcnt lgkmcnt(2)
	v_dot2c_f32_f16_e32 v78, v0, v4
	v_dot2c_f32_f16_e32 v79, v0, v5
	;; [unrolled: 1-line block ×16, first 2 shown]
	s_waitcnt lgkmcnt(1)
	v_dot2c_f32_f16_e32 v74, v0, v8
	v_dot2c_f32_f16_e32 v75, v0, v9
	;; [unrolled: 1-line block ×16, first 2 shown]
	ds_read_b128 v[0:3], v86 offset:6144
	s_waitcnt lgkmcnt(1)
	v_dot2c_f32_f16_e32 v18, v12, v4
	v_dot2c_f32_f16_e32 v19, v12, v5
	;; [unrolled: 1-line block ×16, first 2 shown]
	ds_read_b128 v[4:7], v87 offset:22528
	v_dot2c_f32_f16_e32 v22, v12, v8
	v_dot2c_f32_f16_e32 v23, v12, v9
	;; [unrolled: 1-line block ×16, first 2 shown]
	ds_read_b128 v[8:11], v87 offset:22784
	ds_read_b128 v[12:15], v86 offset:6400
	s_waitcnt lgkmcnt(2)
	v_dot2c_f32_f16_e32 v78, v0, v4
	v_dot2c_f32_f16_e32 v79, v0, v5
	;; [unrolled: 1-line block ×16, first 2 shown]
	s_waitcnt lgkmcnt(1)
	v_dot2c_f32_f16_e32 v74, v0, v8
	v_dot2c_f32_f16_e32 v75, v0, v9
	;; [unrolled: 1-line block ×16, first 2 shown]
	ds_read_b128 v[0:3], v86 offset:6656
	s_waitcnt lgkmcnt(1)
	v_dot2c_f32_f16_e32 v18, v12, v4
	v_dot2c_f32_f16_e32 v19, v12, v5
	;; [unrolled: 1-line block ×16, first 2 shown]
	ds_read_b128 v[4:7], v87 offset:23040
	v_dot2c_f32_f16_e32 v22, v12, v8
	v_dot2c_f32_f16_e32 v23, v12, v9
	;; [unrolled: 1-line block ×16, first 2 shown]
	ds_read_b128 v[8:11], v87 offset:23296
	ds_read_b128 v[12:15], v86 offset:6912
	s_mul_i32 s3, s27, s50
	s_add_i32 s3, s2, s3
	s_mul_i32 s2, s26, s50
	s_waitcnt lgkmcnt(2)
	v_dot2c_f32_f16_e32 v78, v0, v4
	v_dot2c_f32_f16_e32 v79, v0, v5
	;; [unrolled: 1-line block ×16, first 2 shown]
	s_waitcnt lgkmcnt(1)
	v_dot2c_f32_f16_e32 v74, v0, v8
	v_dot2c_f32_f16_e32 v75, v0, v9
	;; [unrolled: 1-line block ×16, first 2 shown]
	ds_read_b128 v[0:3], v86 offset:7168
	s_waitcnt lgkmcnt(1)
	v_dot2c_f32_f16_e32 v18, v12, v4
	v_dot2c_f32_f16_e32 v19, v12, v5
	;; [unrolled: 1-line block ×16, first 2 shown]
	ds_read_b128 v[4:7], v87 offset:23552
	s_lshl_b64 s[2:3], s[2:3], 1
	v_dot2c_f32_f16_e32 v22, v12, v8
	v_dot2c_f32_f16_e32 v23, v12, v9
	;; [unrolled: 1-line block ×16, first 2 shown]
	ds_read_b128 v[8:11], v87 offset:23808
	ds_read_b128 v[12:15], v86 offset:7424
	s_load_dwordx2 s[0:1], s[0:1], 0x10
	s_add_u32 s8, s42, s2
	s_addc_u32 s9, s43, s3
	s_mul_i32 s2, s24, s51
	s_mul_hi_u32 s3, s24, s50
	s_add_i32 s2, s3, s2
	s_mul_i32 s3, s25, s50
	s_add_i32 s3, s2, s3
	s_mul_i32 s2, s24, s50
	s_waitcnt lgkmcnt(0)
	v_dot2c_f32_f16_e32 v78, v0, v4
	v_dot2c_f32_f16_e32 v79, v0, v5
	;; [unrolled: 1-line block ×32, first 2 shown]
	ds_read_b128 v[88:91], v86 offset:7680
	ds_read_b128 v[0:3], v87 offset:24064
	s_lshl_b64 s[2:3], s[2:3], 1
	v_dot2c_f32_f16_e32 v18, v12, v4
	v_dot2c_f32_f16_e32 v19, v12, v5
	;; [unrolled: 1-line block ×32, first 2 shown]
	ds_read_b128 v[4:7], v87 offset:24320
	ds_read_b128 v[8:11], v86 offset:7936
	v_lshl_or_b32 v109, s37, 7, v85
	s_add_u32 s4, s0, s2
	v_lshl_add_u32 v108, s33, 7, v81
	v_mul_lo_u32 v12, v109, s40
	s_addc_u32 s0, s1, s3
	v_mad_u64_u32 v[12:13], s[2:3], v108, s41, v[12:13]
	v_add_u32_e32 v84, s40, v12
	s_waitcnt lgkmcnt(2)
	v_dot2c_f32_f16_e32 v78, v88, v0
	v_dot2c_f32_f16_e32 v79, v88, v1
	;; [unrolled: 1-line block ×4, first 2 shown]
	s_waitcnt lgkmcnt(1)
	v_dot2c_f32_f16_e32 v74, v88, v4
	v_dot2c_f32_f16_e32 v75, v88, v5
	;; [unrolled: 1-line block ×4, first 2 shown]
	s_lshl_b32 s2, s41, 6
	v_add_u32_e32 v88, s40, v84
	s_lshl_b32 s6, s38, 1
	s_and_b32 s5, s0, 0xffff
	s_mov_b32 s7, 0x20000
	v_lshlrev_b32_e32 v13, 1, v12
	v_add_lshl_u32 v86, v88, s2, 1
	buffer_load_dwordx2 v[14:15], v13, s[4:7], 0 offen
	v_add_lshl_u32 v82, v84, s2, 1
	buffer_load_dwordx2 v[86:87], v86, s[4:7], 0 offen
	v_add_lshl_u32 v13, v12, s2, 1
	v_lshlrev_b32_e32 v12, 1, v84
	v_lshlrev_b32_e32 v84, 1, v88
	v_add_u32_e32 v88, s40, v88
	v_dot2c_f32_f16_e32 v66, v89, v0
	v_dot2c_f32_f16_e32 v67, v89, v1
	;; [unrolled: 1-line block ×8, first 2 shown]
	v_lshlrev_b32_e32 v89, 1, v88
	v_dot2c_f32_f16_e32 v62, v90, v0
	v_dot2c_f32_f16_e32 v63, v90, v1
	;; [unrolled: 1-line block ×16, first 2 shown]
	buffer_load_dwordx2 v[82:83], v82, s[4:7], 0 offen
	s_waitcnt lgkmcnt(0)
	v_dot2c_f32_f16_e32 v18, v8, v0
	buffer_load_dwordx2 v[90:91], v89, s[4:7], 0 offen
	v_add_lshl_u32 v89, v88, s2, 1
	buffer_load_dwordx2 v[80:81], v13, s[4:7], 0 offen
	buffer_load_dwordx2 v[92:93], v89, s[4:7], 0 offen
	v_mad_u64_u32 v[88:89], s[0:1], s40, 61, v[88:89]
	v_add_u32_e32 v100, s40, v88
	v_dot2c_f32_f16_e32 v30, v9, v0
	v_lshlrev_b32_e32 v89, 1, v88
	v_dot2c_f32_f16_e32 v34, v10, v0
	v_dot2c_f32_f16_e32 v40, v11, v0
	v_add_u32_e32 v0, s40, v100
	buffer_load_dwordx2 v[94:95], v89, s[4:7], 0 offen
	v_add_lshl_u32 v89, v88, s2, 1
	v_lshlrev_b32_e32 v88, 1, v100
	v_add_lshl_u32 v98, v100, s2, 1
	v_lshlrev_b32_e32 v100, 1, v0
	buffer_load_dwordx2 v[96:97], v89, s[4:7], 0 offen
	v_dot2c_f32_f16_e32 v19, v8, v1
	buffer_load_dwordx2 v[88:89], v88, s[4:7], 0 offen
	v_dot2c_f32_f16_e32 v31, v9, v1
	;; [unrolled: 2-line block ×4, first 2 shown]
	buffer_load_dwordx2 v[84:85], v84, s[4:7], 0 offen
	v_add_lshl_u32 v1, v0, s2, 1
	buffer_load_dwordx2 v[98:99], v98, s[4:7], 0 offen
	v_add_u32_e32 v0, s40, v0
	buffer_load_dwordx2 v[102:103], v1, s[4:7], 0 offen
	v_lshlrev_b32_e32 v1, 1, v0
	buffer_load_dwordx2 v[104:105], v1, s[4:7], 0 offen
	v_add_lshl_u32 v0, v0, s2, 1
	buffer_load_dwordx2 v[106:107], v0, s[4:7], 0 offen
	v_cmp_gt_i32_e32 vcc, s17, v108
	v_cmp_gt_i32_e64 s[0:1], s15, v109
	s_and_b64 s[2:3], s[0:1], vcc
	v_dot2c_f32_f16_e32 v21, v8, v7
	v_dot2c_f32_f16_e32 v25, v9, v7
	;; [unrolled: 1-line block ×8, first 2 shown]
	v_or_b32_e32 v110, 2, v109
	s_waitcnt vmcnt(15)
	v_cndmask_b32_e64 v7, 0, v14, s[2:3]
	v_add_u32_e32 v14, 64, v108
	v_cndmask_b32_e64 v5, 0, v15, s[2:3]
	v_cmp_gt_i32_e64 s[2:3], s17, v14
	s_and_b64 s[0:1], s[0:1], s[2:3]
	v_or_b32_e32 v111, 3, v109
	v_or_b32_e32 v0, 64, v109
	v_dot2c_f32_f16_e32 v17, v8, v3
	v_dot2c_f32_f16_e32 v29, v9, v3
	;; [unrolled: 1-line block ×4, first 2 shown]
	v_add_u32_e32 v3, 0x41, v109
	v_dot2c_f32_f16_e32 v16, v8, v2
	v_dot2c_f32_f16_e32 v28, v9, v2
	;; [unrolled: 1-line block ×12, first 2 shown]
	v_cvt_f32_f16_e32 v6, v7
	v_cvt_f32_f16_sdwa v7, v7 dst_sel:DWORD dst_unused:UNUSED_PAD src0_sel:WORD_1
	v_cvt_f32_f16_e32 v10, v5
	v_cvt_f32_f16_sdwa v11, v5 dst_sel:DWORD dst_unused:UNUSED_PAD src0_sel:WORD_1
	v_mul_lo_u32 v8, v109, s34
	v_pk_add_f32 v[6:7], v[78:79], v[6:7]
	s_lshl_b32 s10, s36, 1
	v_max_f32_e32 v5, 0, v7
	v_max_f32_e32 v6, 0, v6
	v_pk_add_f32 v[10:11], v[76:77], v[10:11]
	v_cvt_pk_f16_f32 v6, v6, v5
	v_max_f32_e32 v5, 0, v11
	s_waitcnt vmcnt(11)
	v_cndmask_b32_e64 v15, 0, v81, s[0:1]
	v_or_b32_e32 v81, 1, v109
	v_cndmask_b32_e64 v80, 0, v80, s[0:1]
	v_cmp_gt_i32_e64 s[0:1], s15, v81
	s_and_b64 s[4:5], s[0:1], vcc
	s_and_b64 s[0:1], s[0:1], s[2:3]
	v_cndmask_b32_e64 v83, 0, v83, s[0:1]
	v_cndmask_b32_e64 v82, 0, v82, s[0:1]
	v_cmp_gt_i32_e64 s[0:1], s15, v110
	v_max_f32_e32 v7, 0, v10
	v_cvt_f32_f16_e32 v10, v80
	v_cvt_f32_f16_sdwa v11, v80 dst_sel:DWORD dst_unused:UNUSED_PAD src0_sel:WORD_1
	v_bfrev_b32_e32 v76, 1
	v_cvt_pk_f16_f32 v7, v7, v5
	s_and_b32 s9, s9, 0xffff
	s_mov_b32 s11, s7
	s_waitcnt vmcnt(5)
	v_cndmask_b32_e64 v13, 0, v13, s[4:5]
	v_cndmask_b32_e64 v12, 0, v12, s[4:5]
	s_and_b64 s[4:5], s[0:1], vcc
	s_and_b64 s[0:1], s[0:1], s[2:3]
	v_cndmask_b32_e64 v87, 0, v87, s[0:1]
	v_cndmask_b32_e64 v86, 0, v86, s[0:1]
	v_cmp_gt_i32_e64 s[0:1], s15, v111
	s_waitcnt vmcnt(4)
	v_cndmask_b32_e64 v85, 0, v85, s[4:5]
	v_cndmask_b32_e64 v84, 0, v84, s[4:5]
	s_and_b64 s[4:5], s[0:1], vcc
	s_and_b64 s[0:1], s[0:1], s[2:3]
	v_cndmask_b32_e64 v93, 0, v93, s[0:1]
	v_cndmask_b32_e64 v92, 0, v92, s[0:1]
	v_cmp_gt_i32_e64 s[0:1], s15, v0
	v_cndmask_b32_e64 v91, 0, v91, s[4:5]
	v_cndmask_b32_e64 v90, 0, v90, s[4:5]
	s_and_b64 s[4:5], s[0:1], vcc
	s_and_b64 s[0:1], s[0:1], s[2:3]
	v_cndmask_b32_e64 v2, 0, v94, s[4:5]
	v_cndmask_b32_e64 v4, 0, v97, s[0:1]
	;; [unrolled: 1-line block ×3, first 2 shown]
	v_cmp_gt_i32_e64 s[0:1], s15, v3
	v_cndmask_b32_e64 v1, 0, v95, s[4:5]
	s_and_b64 s[4:5], s[0:1], vcc
	s_and_b64 s[0:1], s[0:1], s[2:3]
	v_add_u32_e32 v97, 0x42, v109
	s_waitcnt vmcnt(3)
	v_cndmask_b32_e64 v95, 0, v99, s[0:1]
	v_cndmask_b32_e64 v96, 0, v98, s[0:1]
	v_cmp_gt_i32_e64 s[0:1], s15, v97
	v_cndmask_b32_e64 v89, 0, v89, s[4:5]
	v_cndmask_b32_e64 v88, 0, v88, s[4:5]
	s_and_b64 s[4:5], s[0:1], vcc
	s_and_b64 s[0:1], s[0:1], s[2:3]
	v_cndmask_b32_e64 v98, 0, v101, s[4:5]
	s_waitcnt vmcnt(2)
	v_cndmask_b32_e64 v101, 0, v102, s[0:1]
	v_add_u32_e32 v102, 0x43, v109
	v_cndmask_b32_e64 v99, 0, v100, s[4:5]
	v_cndmask_b32_e64 v100, 0, v103, s[0:1]
	v_cmp_gt_i32_e64 s[0:1], s15, v102
	s_and_b64 vcc, s[0:1], vcc
	s_waitcnt vmcnt(1)
	v_cndmask_b32_e32 v103, 0, v105, vcc
	v_cndmask_b32_e32 v104, 0, v104, vcc
	s_and_b64 vcc, s[0:1], s[2:3]
	s_waitcnt vmcnt(0)
	v_cndmask_b32_e32 v105, 0, v107, vcc
	v_cndmask_b32_e32 v106, 0, v106, vcc
	v_mad_u64_u32 v[8:9], s[0:1], v108, s35, v[8:9]
	v_cmp_gt_i32_e32 vcc, s19, v108
	v_cmp_gt_i32_e64 s[2:3], s12, v109
	s_and_b64 s[0:1], s[2:3], vcc
	v_cndmask_b32_e64 v5, v76, 0, s[0:1]
	v_lshl_add_u32 v5, v8, 1, v5
	buffer_store_dwordx2 v[6:7], v5, s[8:11], 0 offen
	v_pk_add_f32 v[6:7], v[74:75], v[10:11]
	v_cvt_f32_f16_e32 v10, v15
	v_cvt_f32_f16_sdwa v11, v15 dst_sel:DWORD dst_unused:UNUSED_PAD src0_sel:WORD_1
	v_max_f32_e32 v7, 0, v7
	v_max_f32_e32 v6, 0, v6
	v_cvt_pk_f16_f32 v6, v6, v7
	v_pk_add_f32 v[10:11], v[72:73], v[10:11]
	v_cmp_gt_i32_e64 s[0:1], s19, v14
	v_max_f32_e32 v7, 0, v11
	v_max_f32_e32 v9, 0, v10
	v_cvt_f32_f16_e32 v10, v82
	v_cvt_f32_f16_sdwa v11, v82 dst_sel:DWORD dst_unused:UNUSED_PAD src0_sel:WORD_1
	s_lshl_b32 s4, s35, 6
	s_and_b64 s[2:3], s[2:3], s[0:1]
	v_add_u32_e32 v5, s4, v8
	v_cvt_pk_f16_f32 v7, v9, v7
	v_cndmask_b32_e64 v9, v76, 0, s[2:3]
	v_lshl_add_u32 v9, v5, 1, v9
	buffer_store_dwordx2 v[6:7], v9, s[8:11], 0 offen
	v_pk_add_f32 v[6:7], v[70:71], v[10:11]
	v_cvt_f32_f16_e32 v10, v83
	v_cvt_f32_f16_sdwa v11, v83 dst_sel:DWORD dst_unused:UNUSED_PAD src0_sel:WORD_1
	v_max_f32_e32 v7, 0, v7
	v_max_f32_e32 v6, 0, v6
	v_cmp_gt_i32_e64 s[2:3], s12, v81
	v_pk_add_f32 v[10:11], v[68:69], v[10:11]
	v_cvt_pk_f16_f32 v6, v6, v7
	v_max_f32_e32 v7, 0, v11
	v_max_f32_e32 v9, 0, v10
	s_and_b64 s[6:7], s[2:3], s[0:1]
	v_add_u32_e32 v5, s34, v5
	v_cvt_pk_f16_f32 v7, v9, v7
	v_cndmask_b32_e64 v9, v76, 0, s[6:7]
	v_cvt_f32_f16_e32 v10, v12
	v_cvt_f32_f16_sdwa v11, v12 dst_sel:DWORD dst_unused:UNUSED_PAD src0_sel:WORD_1
	v_lshl_add_u32 v9, v5, 1, v9
	buffer_store_dwordx2 v[6:7], v9, s[8:11], 0 offen
	v_add_u32_e32 v12, s34, v8
	v_cvt_f32_f16_e32 v8, v13
	v_cvt_f32_f16_sdwa v9, v13 dst_sel:DWORD dst_unused:UNUSED_PAD src0_sel:WORD_1
	v_pk_add_f32 v[6:7], v[66:67], v[10:11]
	s_and_b64 s[2:3], s[2:3], vcc
	v_max_f32_e32 v7, 0, v7
	v_max_f32_e32 v6, 0, v6
	v_pk_add_f32 v[8:9], v[64:65], v[8:9]
	v_cvt_pk_f16_f32 v6, v6, v7
	v_max_f32_e32 v7, 0, v9
	v_max_f32_e32 v8, 0, v8
	v_cvt_pk_f16_f32 v7, v8, v7
	v_cvt_f32_f16_e32 v8, v84
	v_cvt_f32_f16_sdwa v9, v84 dst_sel:DWORD dst_unused:UNUSED_PAD src0_sel:WORD_1
	v_cndmask_b32_e64 v10, v76, 0, s[2:3]
	v_lshl_add_u32 v10, v12, 1, v10
	buffer_store_dwordx2 v[6:7], v10, s[8:11], 0 offen
	v_pk_add_f32 v[6:7], v[62:63], v[8:9]
	v_cvt_f32_f16_e32 v8, v85
	v_cvt_f32_f16_sdwa v9, v85 dst_sel:DWORD dst_unused:UNUSED_PAD src0_sel:WORD_1
	v_max_f32_e32 v7, 0, v7
	v_max_f32_e32 v6, 0, v6
	v_cvt_pk_f16_f32 v6, v6, v7
	v_pk_add_f32 v[8:9], v[60:61], v[8:9]
	v_cmp_gt_i32_e64 s[2:3], s12, v110
	v_max_f32_e32 v7, 0, v9
	v_max_f32_e32 v8, 0, v8
	v_cvt_pk_f16_f32 v7, v8, v7
	v_cvt_f32_f16_e32 v8, v86
	v_cvt_f32_f16_sdwa v9, v86 dst_sel:DWORD dst_unused:UNUSED_PAD src0_sel:WORD_1
	s_and_b64 s[6:7], s[2:3], vcc
	v_add_u32_e32 v10, s34, v12
	v_cndmask_b32_e64 v11, v76, 0, s[6:7]
	v_lshl_add_u32 v10, v10, 1, v11
	buffer_store_dwordx2 v[6:7], v10, s[8:11], 0 offen
	v_pk_add_f32 v[6:7], v[58:59], v[8:9]
	v_cvt_f32_f16_e32 v8, v87
	v_cvt_f32_f16_sdwa v9, v87 dst_sel:DWORD dst_unused:UNUSED_PAD src0_sel:WORD_1
	v_max_f32_e32 v7, 0, v7
	v_max_f32_e32 v6, 0, v6
	v_cvt_pk_f16_f32 v6, v6, v7
	v_pk_add_f32 v[8:9], v[56:57], v[8:9]
	s_and_b64 s[2:3], s[2:3], s[0:1]
	v_max_f32_e32 v7, 0, v9
	v_max_f32_e32 v8, 0, v8
	v_cvt_pk_f16_f32 v7, v8, v7
	v_cvt_f32_f16_e32 v8, v92
	v_cvt_f32_f16_sdwa v9, v92 dst_sel:DWORD dst_unused:UNUSED_PAD src0_sel:WORD_1
	v_add_u32_e32 v5, s34, v5
	v_cndmask_b32_e64 v10, v76, 0, s[2:3]
	v_lshl_add_u32 v10, v5, 1, v10
	buffer_store_dwordx2 v[6:7], v10, s[8:11], 0 offen
	v_pk_add_f32 v[6:7], v[54:55], v[8:9]
	v_cvt_f32_f16_e32 v8, v93
	v_cvt_f32_f16_sdwa v9, v93 dst_sel:DWORD dst_unused:UNUSED_PAD src0_sel:WORD_1
	v_max_f32_e32 v7, 0, v7
	v_max_f32_e32 v6, 0, v6
	v_cvt_pk_f16_f32 v6, v6, v7
	v_pk_add_f32 v[8:9], v[52:53], v[8:9]
	v_cmp_gt_i32_e64 s[2:3], s12, v111
	v_max_f32_e32 v7, 0, v9
	v_max_f32_e32 v8, 0, v8
	v_cvt_pk_f16_f32 v7, v8, v7
	v_cvt_f32_f16_e32 v8, v90
	v_cvt_f32_f16_sdwa v9, v90 dst_sel:DWORD dst_unused:UNUSED_PAD src0_sel:WORD_1
	s_and_b64 s[6:7], s[2:3], s[0:1]
	v_add_u32_e32 v10, s34, v5
	v_cndmask_b32_e64 v11, v76, 0, s[6:7]
	v_lshl_add_u32 v11, v10, 1, v11
	buffer_store_dwordx2 v[6:7], v11, s[8:11], 0 offen
	v_pk_add_f32 v[6:7], v[50:51], v[8:9]
	v_cvt_f32_f16_e32 v8, v91
	v_cvt_f32_f16_sdwa v9, v91 dst_sel:DWORD dst_unused:UNUSED_PAD src0_sel:WORD_1
	v_max_f32_e32 v7, 0, v7
	v_max_f32_e32 v6, 0, v6
	v_cvt_pk_f16_f32 v6, v6, v7
	v_pk_add_f32 v[8:9], v[48:49], v[8:9]
	s_and_b64 s[2:3], s[2:3], vcc
	v_max_f32_e32 v7, 0, v9
	v_max_f32_e32 v8, 0, v8
	v_subrev_u32_e32 v11, s4, v10
	v_cvt_pk_f16_f32 v7, v8, v7
	v_cndmask_b32_e64 v8, v76, 0, s[2:3]
	v_lshl_add_u32 v12, v11, 1, v8
	v_cvt_f32_f16_e32 v8, v104
	v_cvt_f32_f16_sdwa v9, v104 dst_sel:DWORD dst_unused:UNUSED_PAD src0_sel:WORD_1
	buffer_store_dwordx2 v[6:7], v12, s[8:11], 0 offen
	v_cmp_gt_i32_e64 s[2:3], s12, v102
	s_lshl_b32 s5, s34, 6
	v_pk_add_f32 v[6:7], v[40:41], v[8:9]
	v_cvt_f32_f16_e32 v8, v103
	v_cvt_f32_f16_sdwa v9, v103 dst_sel:DWORD dst_unused:UNUSED_PAD src0_sel:WORD_1
	v_max_f32_e32 v7, 0, v7
	v_max_f32_e32 v6, 0, v6
	v_cvt_pk_f16_f32 v6, v6, v7
	v_pk_add_f32 v[8:9], v[46:47], v[8:9]
	s_and_b64 s[6:7], s[2:3], vcc
	v_max_f32_e32 v7, 0, v9
	v_max_f32_e32 v8, 0, v8
	v_cvt_pk_f16_f32 v7, v8, v7
	v_cvt_f32_f16_e32 v8, v106
	v_cvt_f32_f16_sdwa v9, v106 dst_sel:DWORD dst_unused:UNUSED_PAD src0_sel:WORD_1
	v_add_u32_e32 v11, s5, v11
	v_cndmask_b32_e64 v12, v76, 0, s[6:7]
	v_lshl_add_u32 v11, v11, 1, v12
	buffer_store_dwordx2 v[6:7], v11, s[8:11], 0 offen
	v_pk_add_f32 v[6:7], v[44:45], v[8:9]
	v_cvt_f32_f16_e32 v8, v105
	v_cvt_f32_f16_sdwa v9, v105 dst_sel:DWORD dst_unused:UNUSED_PAD src0_sel:WORD_1
	v_max_f32_e32 v7, 0, v7
	v_max_f32_e32 v6, 0, v6
	v_cvt_pk_f16_f32 v6, v6, v7
	v_pk_add_f32 v[8:9], v[42:43], v[8:9]
	s_and_b64 s[2:3], s[2:3], s[0:1]
	v_max_f32_e32 v7, 0, v9
	v_max_f32_e32 v8, 0, v8
	v_cvt_pk_f16_f32 v7, v8, v7
	v_cvt_f32_f16_e32 v8, v101
	v_cvt_f32_f16_sdwa v9, v101 dst_sel:DWORD dst_unused:UNUSED_PAD src0_sel:WORD_1
	v_add_u32_e32 v10, s5, v10
	v_cndmask_b32_e64 v11, v76, 0, s[2:3]
	v_lshl_add_u32 v10, v10, 1, v11
	buffer_store_dwordx2 v[6:7], v10, s[8:11], 0 offen
	v_pk_add_f32 v[6:7], v[38:39], v[8:9]
	v_cvt_f32_f16_e32 v8, v100
	v_cvt_f32_f16_sdwa v9, v100 dst_sel:DWORD dst_unused:UNUSED_PAD src0_sel:WORD_1
	v_max_f32_e32 v7, 0, v7
	v_max_f32_e32 v6, 0, v6
	v_cvt_pk_f16_f32 v6, v6, v7
	v_pk_add_f32 v[8:9], v[36:37], v[8:9]
	v_cmp_ge_i32_e64 s[2:3], s12, v102
	v_max_f32_e32 v7, 0, v9
	v_max_f32_e32 v8, 0, v8
	v_cvt_pk_f16_f32 v7, v8, v7
	v_cvt_f32_f16_e32 v8, v99
	v_cvt_f32_f16_sdwa v9, v99 dst_sel:DWORD dst_unused:UNUSED_PAD src0_sel:WORD_1
	s_and_b64 s[2:3], s[2:3], s[0:1]
	v_add_u32_e32 v5, s5, v5
	v_cndmask_b32_e64 v10, v76, 0, s[2:3]
	v_lshl_add_u32 v10, v5, 1, v10
	buffer_store_dwordx2 v[6:7], v10, s[8:11], 0 offen
	v_pk_add_f32 v[6:7], v[34:35], v[8:9]
	v_cvt_f32_f16_e32 v8, v98
	v_cvt_f32_f16_sdwa v9, v98 dst_sel:DWORD dst_unused:UNUSED_PAD src0_sel:WORD_1
	v_max_f32_e32 v7, 0, v7
	v_max_f32_e32 v6, 0, v6
	v_cvt_pk_f16_f32 v6, v6, v7
	v_pk_add_f32 v[8:9], v[32:33], v[8:9]
	v_cmp_gt_i32_e64 s[2:3], s12, v97
	v_max_f32_e32 v7, 0, v9
	v_max_f32_e32 v8, 0, v8
	v_cvt_pk_f16_f32 v7, v8, v7
	v_cvt_f32_f16_e32 v8, v88
	v_cvt_f32_f16_sdwa v9, v88 dst_sel:DWORD dst_unused:UNUSED_PAD src0_sel:WORD_1
	s_and_b64 s[2:3], s[2:3], vcc
	v_subrev_u32_e32 v5, s4, v5
	v_cndmask_b32_e64 v10, v76, 0, s[2:3]
	v_lshl_add_u32 v10, v5, 1, v10
	buffer_store_dwordx2 v[6:7], v10, s[8:11], 0 offen
	v_pk_add_f32 v[6:7], v[30:31], v[8:9]
	v_cvt_f32_f16_e32 v8, v89
	v_cvt_f32_f16_sdwa v9, v89 dst_sel:DWORD dst_unused:UNUSED_PAD src0_sel:WORD_1
	v_max_f32_e32 v7, 0, v7
	v_max_f32_e32 v6, 0, v6
	v_cvt_pk_f16_f32 v6, v6, v7
	v_pk_add_f32 v[8:9], v[28:29], v[8:9]
	v_cmp_ge_i32_e64 s[2:3], s12, v97
	v_max_f32_e32 v7, 0, v9
	v_max_f32_e32 v8, 0, v8
	v_cvt_pk_f16_f32 v7, v8, v7
	v_cvt_f32_f16_e32 v8, v96
	v_cvt_f32_f16_sdwa v9, v96 dst_sel:DWORD dst_unused:UNUSED_PAD src0_sel:WORD_1
	s_and_b64 s[2:3], s[2:3], vcc
	v_subrev_u32_e32 v5, s34, v5
	v_cndmask_b32_e64 v10, v76, 0, s[2:3]
	v_lshl_add_u32 v10, v5, 1, v10
	buffer_store_dwordx2 v[6:7], v10, s[8:11], 0 offen
	v_pk_add_f32 v[6:7], v[26:27], v[8:9]
	v_cvt_f32_f16_e32 v8, v95
	v_cvt_f32_f16_sdwa v9, v95 dst_sel:DWORD dst_unused:UNUSED_PAD src0_sel:WORD_1
	v_max_f32_e32 v7, 0, v7
	v_max_f32_e32 v6, 0, v6
	v_cvt_pk_f16_f32 v6, v6, v7
	v_pk_add_f32 v[8:9], v[24:25], v[8:9]
	v_cmp_gt_i32_e64 s[2:3], s12, v3
	v_max_f32_e32 v7, 0, v9
	v_max_f32_e32 v8, 0, v8
	v_cvt_pk_f16_f32 v7, v8, v7
	v_cvt_f32_f16_e32 v8, v94
	v_cvt_f32_f16_sdwa v9, v94 dst_sel:DWORD dst_unused:UNUSED_PAD src0_sel:WORD_1
	s_and_b64 s[2:3], s[2:3], s[0:1]
	v_add_u32_e32 v5, s4, v5
	v_cndmask_b32_e64 v10, v76, 0, s[2:3]
	v_lshl_add_u32 v10, v5, 1, v10
	buffer_store_dwordx2 v[6:7], v10, s[8:11], 0 offen
	v_pk_add_f32 v[6:7], v[22:23], v[8:9]
	v_cvt_f32_f16_e32 v8, v4
	v_cvt_f32_f16_sdwa v9, v4 dst_sel:DWORD dst_unused:UNUSED_PAD src0_sel:WORD_1
	v_cmp_ge_i32_e64 s[2:3], s12, v3
	v_subrev_u32_e32 v10, s34, v5
	v_max_f32_e32 v4, 0, v7
	v_max_f32_e32 v5, 0, v6
	v_pk_add_f32 v[6:7], v[20:21], v[8:9]
	s_and_b64 s[0:1], s[2:3], s[0:1]
	v_cvt_pk_f16_f32 v4, v5, v4
	v_max_f32_e32 v5, 0, v7
	v_max_f32_e32 v6, 0, v6
	v_cndmask_b32_e64 v3, v76, 0, s[0:1]
	v_cvt_pk_f16_f32 v5, v6, v5
	v_cvt_f32_f16_e32 v6, v2
	v_cvt_f32_f16_sdwa v7, v2 dst_sel:DWORD dst_unused:UNUSED_PAD src0_sel:WORD_1
	v_lshl_add_u32 v2, v10, 1, v3
	buffer_store_dwordx2 v[4:5], v2, s[8:11], 0 offen
	v_cvt_f32_f16_e32 v4, v1
	v_cvt_f32_f16_sdwa v5, v1 dst_sel:DWORD dst_unused:UNUSED_PAD src0_sel:WORD_1
	v_pk_add_f32 v[2:3], v[18:19], v[6:7]
	v_cmp_gt_i32_e64 s[0:1], s12, v0
	v_max_f32_e32 v1, 0, v3
	v_max_f32_e32 v2, 0, v2
	v_pk_add_f32 v[4:5], v[16:17], v[4:5]
	s_and_b64 s[0:1], s[0:1], vcc
	v_subrev_u32_e32 v8, s4, v10
	v_cvt_pk_f16_f32 v2, v2, v1
	v_max_f32_e32 v1, 0, v5
	v_max_f32_e32 v3, 0, v4
	v_cndmask_b32_e64 v0, v76, 0, s[0:1]
	v_cvt_pk_f16_f32 v3, v3, v1
	v_lshl_add_u32 v0, v8, 1, v0
	buffer_store_dwordx2 v[2:3], v0, s[8:11], 0 offen
	s_endpgm
	.section	.rodata,"a",@progbits
	.p2align	6, 0x0
	.amdhsa_kernel _ZN2ck16tensor_operation6device12_GLOBAL__N_137kernel_grouped_conv_fwd_dl_multiple_dINS_32GridwiseGemmDlMultipleD_km_kn_mnILi256EDF16_fNS_5TupleIJDF16_EEEDF16_NS0_12element_wise11PassThroughES8_NS7_7AddReluELNS_25InMemoryDataOperationEnumE0ENS_16TensorDescriptorINS5_IJNS_5EmbedINS5_IJiiiEEESD_Lb0EEENS_11PassThroughIiEENS_3PadIiiiLb0EEESG_SG_NSC_INS5_IJiiEEESJ_Lb0EEESG_NS_23Merge_v2_magic_divisionISJ_EESM_NS_8RightPadIiiLb0EEESO_NS_7UnMergeISJ_Lb0EEESG_EEENS5_IJNS_8SequenceIJLi0EEEENSS_IJLi1EEEENSS_IJLi2EEEENSS_IJLi3EEEENSS_IJLi4EEEENSS_IJLi5EEEENSS_IJLi6EEEENSS_IJLi7ELi9EEEENSS_IJLi8ELi10EEEENSS_IJLi11EEEENSS_IJLi12EEEENSS_IJLi14EEEENSS_IJLi13EEEEEEENS5_IJNSS_IJLi1ELi2ELi3EEEESX_SY_SZ_NSS_IJLi7EEEENSS_IJLi8ELi9EEEENSS_IJLi10EEEES12_S13_S15_S14_NSS_IJLi15ELi16EEEENSS_IJLi17EEEEEEENSS_IJLi15ELi17ELi16EEEElEENSB_INS5_IJSQ_SO_SO_SQ_SG_EEENS5_IJST_SU_SV_SX_SW_EEENS5_IJNSS_IJLi1ELi2EEEESW_SX_NSS_IJLi5ELi6EEEES18_EEENSS_IJLi5ELi7ELi6EEEElEENSB_INS5_IJSK_SO_SO_EEENS5_IJST_SU_SV_EEENS5_IJS1I_SW_SX_EEENSS_IJLi3ELi4EEEElEELi128ELi128ELi16ELi2ELi4ELi4ELi1ENSS_IJLi8ELi2EEEES1S_NSS_IJLi8ELi1ELi1ELi2EEEENSS_IJLi2ELi1ELi128ELi1EEEENSS_IJLi1ELi2ELi0ELi3EEEES1V_NSS_IJLi4ELi1ELi1ELi2EEEES1V_NSS_IJLi1ELi1ELi1ELi2EEEES1T_S1U_S1V_S1V_S1W_S1V_S1X_NSS_IJLi0ELi1ELi2ELi3ELi4ELi5EEEELi5ELi4EEEDF16_NS5_IJPKDF16_EEEDF16_S8_S8_S9_NSB_INS5_IJSE_SG_SI_SG_SG_SK_SG_SM_SM_SO_SO_SQ_SG_SG_NSP_INS5_IJiNS_17integral_constantIiLi128EEEEEELb0EEENSF_INS23_IiLi2EEEEEEEENS5_IJST_SU_SV_SW_SX_SY_SZ_S10_S11_S12_S13_S14_S15_NSS_IJLi15EEEES1C_NSS_IJLi16EEEEEEENS5_IJS17_SX_SY_SZ_S18_S19_S1A_S12_S13_S15_S14_S1B_S1C_NSS_IJLi18EEEENSS_IJLi19ELi20EEEENSS_IJLi21EEEEEEENSS_IJLi18ELi19ELi20ELi21EEEElEENSB_INS5_IJSQ_SO_SO_SQ_SG_SG_S26_S28_EEENS5_IJST_SU_SV_SX_SW_SY_S18_SZ_EEENS5_IJS1I_SW_SX_S1J_S18_NSS_IJLi8EEEENSS_IJLi9ELi10EEEES12_EEENSS_IJLi8ELi9ELi10ELi11EEEElEENS5_IJNSB_INS5_IJSK_SO_SO_NSP_INS5_IJiS27_NS23_IiLi64EEEEEELb0EEES2S_EEENS5_IJST_SU_SV_SW_SX_EEENS5_IJS1I_SW_SX_NSS_IJLi5ELi6ELi7EEEENSS_IJLi8ELi9ELi10EEEEEEENSS_IJLi5ELi6ELi7ELi8ELi9ELi10EEEElEEEEES2Z_NS_31BlockToCTileMap_M00_N00_M01_N01ILi128ELi128ES1R_Lb0EEENS1_30ComputePtrOffsetOfStridedBatchILi1ELi1ELi1EvEELb1ELb0EEEvPKT0_S37_T1_PT2_T3_T4_T5_iT6_T7_T8_T9_T10_T11_
		.amdhsa_group_segment_fixed_size 32768
		.amdhsa_private_segment_fixed_size 0
		.amdhsa_kernarg_size 904
		.amdhsa_user_sgpr_count 2
		.amdhsa_user_sgpr_dispatch_ptr 0
		.amdhsa_user_sgpr_queue_ptr 0
		.amdhsa_user_sgpr_kernarg_segment_ptr 1
		.amdhsa_user_sgpr_dispatch_id 0
		.amdhsa_user_sgpr_kernarg_preload_length 0
		.amdhsa_user_sgpr_kernarg_preload_offset 0
		.amdhsa_user_sgpr_private_segment_size 0
		.amdhsa_uses_dynamic_stack 0
		.amdhsa_enable_private_segment 0
		.amdhsa_system_sgpr_workgroup_id_x 1
		.amdhsa_system_sgpr_workgroup_id_y 0
		.amdhsa_system_sgpr_workgroup_id_z 0
		.amdhsa_system_sgpr_workgroup_info 0
		.amdhsa_system_vgpr_workitem_id 0
		.amdhsa_next_free_vgpr 130
		.amdhsa_next_free_sgpr 96
		.amdhsa_accum_offset 132
		.amdhsa_reserve_vcc 1
		.amdhsa_float_round_mode_32 0
		.amdhsa_float_round_mode_16_64 0
		.amdhsa_float_denorm_mode_32 3
		.amdhsa_float_denorm_mode_16_64 3
		.amdhsa_dx10_clamp 1
		.amdhsa_ieee_mode 1
		.amdhsa_fp16_overflow 0
		.amdhsa_tg_split 0
		.amdhsa_exception_fp_ieee_invalid_op 0
		.amdhsa_exception_fp_denorm_src 0
		.amdhsa_exception_fp_ieee_div_zero 0
		.amdhsa_exception_fp_ieee_overflow 0
		.amdhsa_exception_fp_ieee_underflow 0
		.amdhsa_exception_fp_ieee_inexact 0
		.amdhsa_exception_int_div_zero 0
	.end_amdhsa_kernel
	.section	.text._ZN2ck16tensor_operation6device12_GLOBAL__N_137kernel_grouped_conv_fwd_dl_multiple_dINS_32GridwiseGemmDlMultipleD_km_kn_mnILi256EDF16_fNS_5TupleIJDF16_EEEDF16_NS0_12element_wise11PassThroughES8_NS7_7AddReluELNS_25InMemoryDataOperationEnumE0ENS_16TensorDescriptorINS5_IJNS_5EmbedINS5_IJiiiEEESD_Lb0EEENS_11PassThroughIiEENS_3PadIiiiLb0EEESG_SG_NSC_INS5_IJiiEEESJ_Lb0EEESG_NS_23Merge_v2_magic_divisionISJ_EESM_NS_8RightPadIiiLb0EEESO_NS_7UnMergeISJ_Lb0EEESG_EEENS5_IJNS_8SequenceIJLi0EEEENSS_IJLi1EEEENSS_IJLi2EEEENSS_IJLi3EEEENSS_IJLi4EEEENSS_IJLi5EEEENSS_IJLi6EEEENSS_IJLi7ELi9EEEENSS_IJLi8ELi10EEEENSS_IJLi11EEEENSS_IJLi12EEEENSS_IJLi14EEEENSS_IJLi13EEEEEEENS5_IJNSS_IJLi1ELi2ELi3EEEESX_SY_SZ_NSS_IJLi7EEEENSS_IJLi8ELi9EEEENSS_IJLi10EEEES12_S13_S15_S14_NSS_IJLi15ELi16EEEENSS_IJLi17EEEEEEENSS_IJLi15ELi17ELi16EEEElEENSB_INS5_IJSQ_SO_SO_SQ_SG_EEENS5_IJST_SU_SV_SX_SW_EEENS5_IJNSS_IJLi1ELi2EEEESW_SX_NSS_IJLi5ELi6EEEES18_EEENSS_IJLi5ELi7ELi6EEEElEENSB_INS5_IJSK_SO_SO_EEENS5_IJST_SU_SV_EEENS5_IJS1I_SW_SX_EEENSS_IJLi3ELi4EEEElEELi128ELi128ELi16ELi2ELi4ELi4ELi1ENSS_IJLi8ELi2EEEES1S_NSS_IJLi8ELi1ELi1ELi2EEEENSS_IJLi2ELi1ELi128ELi1EEEENSS_IJLi1ELi2ELi0ELi3EEEES1V_NSS_IJLi4ELi1ELi1ELi2EEEES1V_NSS_IJLi1ELi1ELi1ELi2EEEES1T_S1U_S1V_S1V_S1W_S1V_S1X_NSS_IJLi0ELi1ELi2ELi3ELi4ELi5EEEELi5ELi4EEEDF16_NS5_IJPKDF16_EEEDF16_S8_S8_S9_NSB_INS5_IJSE_SG_SI_SG_SG_SK_SG_SM_SM_SO_SO_SQ_SG_SG_NSP_INS5_IJiNS_17integral_constantIiLi128EEEEEELb0EEENSF_INS23_IiLi2EEEEEEEENS5_IJST_SU_SV_SW_SX_SY_SZ_S10_S11_S12_S13_S14_S15_NSS_IJLi15EEEES1C_NSS_IJLi16EEEEEEENS5_IJS17_SX_SY_SZ_S18_S19_S1A_S12_S13_S15_S14_S1B_S1C_NSS_IJLi18EEEENSS_IJLi19ELi20EEEENSS_IJLi21EEEEEEENSS_IJLi18ELi19ELi20ELi21EEEElEENSB_INS5_IJSQ_SO_SO_SQ_SG_SG_S26_S28_EEENS5_IJST_SU_SV_SX_SW_SY_S18_SZ_EEENS5_IJS1I_SW_SX_S1J_S18_NSS_IJLi8EEEENSS_IJLi9ELi10EEEES12_EEENSS_IJLi8ELi9ELi10ELi11EEEElEENS5_IJNSB_INS5_IJSK_SO_SO_NSP_INS5_IJiS27_NS23_IiLi64EEEEEELb0EEES2S_EEENS5_IJST_SU_SV_SW_SX_EEENS5_IJS1I_SW_SX_NSS_IJLi5ELi6ELi7EEEENSS_IJLi8ELi9ELi10EEEEEEENSS_IJLi5ELi6ELi7ELi8ELi9ELi10EEEElEEEEES2Z_NS_31BlockToCTileMap_M00_N00_M01_N01ILi128ELi128ES1R_Lb0EEENS1_30ComputePtrOffsetOfStridedBatchILi1ELi1ELi1EvEELb1ELb0EEEvPKT0_S37_T1_PT2_T3_T4_T5_iT6_T7_T8_T9_T10_T11_,"axG",@progbits,_ZN2ck16tensor_operation6device12_GLOBAL__N_137kernel_grouped_conv_fwd_dl_multiple_dINS_32GridwiseGemmDlMultipleD_km_kn_mnILi256EDF16_fNS_5TupleIJDF16_EEEDF16_NS0_12element_wise11PassThroughES8_NS7_7AddReluELNS_25InMemoryDataOperationEnumE0ENS_16TensorDescriptorINS5_IJNS_5EmbedINS5_IJiiiEEESD_Lb0EEENS_11PassThroughIiEENS_3PadIiiiLb0EEESG_SG_NSC_INS5_IJiiEEESJ_Lb0EEESG_NS_23Merge_v2_magic_divisionISJ_EESM_NS_8RightPadIiiLb0EEESO_NS_7UnMergeISJ_Lb0EEESG_EEENS5_IJNS_8SequenceIJLi0EEEENSS_IJLi1EEEENSS_IJLi2EEEENSS_IJLi3EEEENSS_IJLi4EEEENSS_IJLi5EEEENSS_IJLi6EEEENSS_IJLi7ELi9EEEENSS_IJLi8ELi10EEEENSS_IJLi11EEEENSS_IJLi12EEEENSS_IJLi14EEEENSS_IJLi13EEEEEEENS5_IJNSS_IJLi1ELi2ELi3EEEESX_SY_SZ_NSS_IJLi7EEEENSS_IJLi8ELi9EEEENSS_IJLi10EEEES12_S13_S15_S14_NSS_IJLi15ELi16EEEENSS_IJLi17EEEEEEENSS_IJLi15ELi17ELi16EEEElEENSB_INS5_IJSQ_SO_SO_SQ_SG_EEENS5_IJST_SU_SV_SX_SW_EEENS5_IJNSS_IJLi1ELi2EEEESW_SX_NSS_IJLi5ELi6EEEES18_EEENSS_IJLi5ELi7ELi6EEEElEENSB_INS5_IJSK_SO_SO_EEENS5_IJST_SU_SV_EEENS5_IJS1I_SW_SX_EEENSS_IJLi3ELi4EEEElEELi128ELi128ELi16ELi2ELi4ELi4ELi1ENSS_IJLi8ELi2EEEES1S_NSS_IJLi8ELi1ELi1ELi2EEEENSS_IJLi2ELi1ELi128ELi1EEEENSS_IJLi1ELi2ELi0ELi3EEEES1V_NSS_IJLi4ELi1ELi1ELi2EEEES1V_NSS_IJLi1ELi1ELi1ELi2EEEES1T_S1U_S1V_S1V_S1W_S1V_S1X_NSS_IJLi0ELi1ELi2ELi3ELi4ELi5EEEELi5ELi4EEEDF16_NS5_IJPKDF16_EEEDF16_S8_S8_S9_NSB_INS5_IJSE_SG_SI_SG_SG_SK_SG_SM_SM_SO_SO_SQ_SG_SG_NSP_INS5_IJiNS_17integral_constantIiLi128EEEEEELb0EEENSF_INS23_IiLi2EEEEEEEENS5_IJST_SU_SV_SW_SX_SY_SZ_S10_S11_S12_S13_S14_S15_NSS_IJLi15EEEES1C_NSS_IJLi16EEEEEEENS5_IJS17_SX_SY_SZ_S18_S19_S1A_S12_S13_S15_S14_S1B_S1C_NSS_IJLi18EEEENSS_IJLi19ELi20EEEENSS_IJLi21EEEEEEENSS_IJLi18ELi19ELi20ELi21EEEElEENSB_INS5_IJSQ_SO_SO_SQ_SG_SG_S26_S28_EEENS5_IJST_SU_SV_SX_SW_SY_S18_SZ_EEENS5_IJS1I_SW_SX_S1J_S18_NSS_IJLi8EEEENSS_IJLi9ELi10EEEES12_EEENSS_IJLi8ELi9ELi10ELi11EEEElEENS5_IJNSB_INS5_IJSK_SO_SO_NSP_INS5_IJiS27_NS23_IiLi64EEEEEELb0EEES2S_EEENS5_IJST_SU_SV_SW_SX_EEENS5_IJS1I_SW_SX_NSS_IJLi5ELi6ELi7EEEENSS_IJLi8ELi9ELi10EEEEEEENSS_IJLi5ELi6ELi7ELi8ELi9ELi10EEEElEEEEES2Z_NS_31BlockToCTileMap_M00_N00_M01_N01ILi128ELi128ES1R_Lb0EEENS1_30ComputePtrOffsetOfStridedBatchILi1ELi1ELi1EvEELb1ELb0EEEvPKT0_S37_T1_PT2_T3_T4_T5_iT6_T7_T8_T9_T10_T11_,comdat
.Lfunc_end2:
	.size	_ZN2ck16tensor_operation6device12_GLOBAL__N_137kernel_grouped_conv_fwd_dl_multiple_dINS_32GridwiseGemmDlMultipleD_km_kn_mnILi256EDF16_fNS_5TupleIJDF16_EEEDF16_NS0_12element_wise11PassThroughES8_NS7_7AddReluELNS_25InMemoryDataOperationEnumE0ENS_16TensorDescriptorINS5_IJNS_5EmbedINS5_IJiiiEEESD_Lb0EEENS_11PassThroughIiEENS_3PadIiiiLb0EEESG_SG_NSC_INS5_IJiiEEESJ_Lb0EEESG_NS_23Merge_v2_magic_divisionISJ_EESM_NS_8RightPadIiiLb0EEESO_NS_7UnMergeISJ_Lb0EEESG_EEENS5_IJNS_8SequenceIJLi0EEEENSS_IJLi1EEEENSS_IJLi2EEEENSS_IJLi3EEEENSS_IJLi4EEEENSS_IJLi5EEEENSS_IJLi6EEEENSS_IJLi7ELi9EEEENSS_IJLi8ELi10EEEENSS_IJLi11EEEENSS_IJLi12EEEENSS_IJLi14EEEENSS_IJLi13EEEEEEENS5_IJNSS_IJLi1ELi2ELi3EEEESX_SY_SZ_NSS_IJLi7EEEENSS_IJLi8ELi9EEEENSS_IJLi10EEEES12_S13_S15_S14_NSS_IJLi15ELi16EEEENSS_IJLi17EEEEEEENSS_IJLi15ELi17ELi16EEEElEENSB_INS5_IJSQ_SO_SO_SQ_SG_EEENS5_IJST_SU_SV_SX_SW_EEENS5_IJNSS_IJLi1ELi2EEEESW_SX_NSS_IJLi5ELi6EEEES18_EEENSS_IJLi5ELi7ELi6EEEElEENSB_INS5_IJSK_SO_SO_EEENS5_IJST_SU_SV_EEENS5_IJS1I_SW_SX_EEENSS_IJLi3ELi4EEEElEELi128ELi128ELi16ELi2ELi4ELi4ELi1ENSS_IJLi8ELi2EEEES1S_NSS_IJLi8ELi1ELi1ELi2EEEENSS_IJLi2ELi1ELi128ELi1EEEENSS_IJLi1ELi2ELi0ELi3EEEES1V_NSS_IJLi4ELi1ELi1ELi2EEEES1V_NSS_IJLi1ELi1ELi1ELi2EEEES1T_S1U_S1V_S1V_S1W_S1V_S1X_NSS_IJLi0ELi1ELi2ELi3ELi4ELi5EEEELi5ELi4EEEDF16_NS5_IJPKDF16_EEEDF16_S8_S8_S9_NSB_INS5_IJSE_SG_SI_SG_SG_SK_SG_SM_SM_SO_SO_SQ_SG_SG_NSP_INS5_IJiNS_17integral_constantIiLi128EEEEEELb0EEENSF_INS23_IiLi2EEEEEEEENS5_IJST_SU_SV_SW_SX_SY_SZ_S10_S11_S12_S13_S14_S15_NSS_IJLi15EEEES1C_NSS_IJLi16EEEEEEENS5_IJS17_SX_SY_SZ_S18_S19_S1A_S12_S13_S15_S14_S1B_S1C_NSS_IJLi18EEEENSS_IJLi19ELi20EEEENSS_IJLi21EEEEEEENSS_IJLi18ELi19ELi20ELi21EEEElEENSB_INS5_IJSQ_SO_SO_SQ_SG_SG_S26_S28_EEENS5_IJST_SU_SV_SX_SW_SY_S18_SZ_EEENS5_IJS1I_SW_SX_S1J_S18_NSS_IJLi8EEEENSS_IJLi9ELi10EEEES12_EEENSS_IJLi8ELi9ELi10ELi11EEEElEENS5_IJNSB_INS5_IJSK_SO_SO_NSP_INS5_IJiS27_NS23_IiLi64EEEEEELb0EEES2S_EEENS5_IJST_SU_SV_SW_SX_EEENS5_IJS1I_SW_SX_NSS_IJLi5ELi6ELi7EEEENSS_IJLi8ELi9ELi10EEEEEEENSS_IJLi5ELi6ELi7ELi8ELi9ELi10EEEElEEEEES2Z_NS_31BlockToCTileMap_M00_N00_M01_N01ILi128ELi128ES1R_Lb0EEENS1_30ComputePtrOffsetOfStridedBatchILi1ELi1ELi1EvEELb1ELb0EEEvPKT0_S37_T1_PT2_T3_T4_T5_iT6_T7_T8_T9_T10_T11_, .Lfunc_end2-_ZN2ck16tensor_operation6device12_GLOBAL__N_137kernel_grouped_conv_fwd_dl_multiple_dINS_32GridwiseGemmDlMultipleD_km_kn_mnILi256EDF16_fNS_5TupleIJDF16_EEEDF16_NS0_12element_wise11PassThroughES8_NS7_7AddReluELNS_25InMemoryDataOperationEnumE0ENS_16TensorDescriptorINS5_IJNS_5EmbedINS5_IJiiiEEESD_Lb0EEENS_11PassThroughIiEENS_3PadIiiiLb0EEESG_SG_NSC_INS5_IJiiEEESJ_Lb0EEESG_NS_23Merge_v2_magic_divisionISJ_EESM_NS_8RightPadIiiLb0EEESO_NS_7UnMergeISJ_Lb0EEESG_EEENS5_IJNS_8SequenceIJLi0EEEENSS_IJLi1EEEENSS_IJLi2EEEENSS_IJLi3EEEENSS_IJLi4EEEENSS_IJLi5EEEENSS_IJLi6EEEENSS_IJLi7ELi9EEEENSS_IJLi8ELi10EEEENSS_IJLi11EEEENSS_IJLi12EEEENSS_IJLi14EEEENSS_IJLi13EEEEEEENS5_IJNSS_IJLi1ELi2ELi3EEEESX_SY_SZ_NSS_IJLi7EEEENSS_IJLi8ELi9EEEENSS_IJLi10EEEES12_S13_S15_S14_NSS_IJLi15ELi16EEEENSS_IJLi17EEEEEEENSS_IJLi15ELi17ELi16EEEElEENSB_INS5_IJSQ_SO_SO_SQ_SG_EEENS5_IJST_SU_SV_SX_SW_EEENS5_IJNSS_IJLi1ELi2EEEESW_SX_NSS_IJLi5ELi6EEEES18_EEENSS_IJLi5ELi7ELi6EEEElEENSB_INS5_IJSK_SO_SO_EEENS5_IJST_SU_SV_EEENS5_IJS1I_SW_SX_EEENSS_IJLi3ELi4EEEElEELi128ELi128ELi16ELi2ELi4ELi4ELi1ENSS_IJLi8ELi2EEEES1S_NSS_IJLi8ELi1ELi1ELi2EEEENSS_IJLi2ELi1ELi128ELi1EEEENSS_IJLi1ELi2ELi0ELi3EEEES1V_NSS_IJLi4ELi1ELi1ELi2EEEES1V_NSS_IJLi1ELi1ELi1ELi2EEEES1T_S1U_S1V_S1V_S1W_S1V_S1X_NSS_IJLi0ELi1ELi2ELi3ELi4ELi5EEEELi5ELi4EEEDF16_NS5_IJPKDF16_EEEDF16_S8_S8_S9_NSB_INS5_IJSE_SG_SI_SG_SG_SK_SG_SM_SM_SO_SO_SQ_SG_SG_NSP_INS5_IJiNS_17integral_constantIiLi128EEEEEELb0EEENSF_INS23_IiLi2EEEEEEEENS5_IJST_SU_SV_SW_SX_SY_SZ_S10_S11_S12_S13_S14_S15_NSS_IJLi15EEEES1C_NSS_IJLi16EEEEEEENS5_IJS17_SX_SY_SZ_S18_S19_S1A_S12_S13_S15_S14_S1B_S1C_NSS_IJLi18EEEENSS_IJLi19ELi20EEEENSS_IJLi21EEEEEEENSS_IJLi18ELi19ELi20ELi21EEEElEENSB_INS5_IJSQ_SO_SO_SQ_SG_SG_S26_S28_EEENS5_IJST_SU_SV_SX_SW_SY_S18_SZ_EEENS5_IJS1I_SW_SX_S1J_S18_NSS_IJLi8EEEENSS_IJLi9ELi10EEEES12_EEENSS_IJLi8ELi9ELi10ELi11EEEElEENS5_IJNSB_INS5_IJSK_SO_SO_NSP_INS5_IJiS27_NS23_IiLi64EEEEEELb0EEES2S_EEENS5_IJST_SU_SV_SW_SX_EEENS5_IJS1I_SW_SX_NSS_IJLi5ELi6ELi7EEEENSS_IJLi8ELi9ELi10EEEEEEENSS_IJLi5ELi6ELi7ELi8ELi9ELi10EEEElEEEEES2Z_NS_31BlockToCTileMap_M00_N00_M01_N01ILi128ELi128ES1R_Lb0EEENS1_30ComputePtrOffsetOfStridedBatchILi1ELi1ELi1EvEELb1ELb0EEEvPKT0_S37_T1_PT2_T3_T4_T5_iT6_T7_T8_T9_T10_T11_
                                        ; -- End function
	.set _ZN2ck16tensor_operation6device12_GLOBAL__N_137kernel_grouped_conv_fwd_dl_multiple_dINS_32GridwiseGemmDlMultipleD_km_kn_mnILi256EDF16_fNS_5TupleIJDF16_EEEDF16_NS0_12element_wise11PassThroughES8_NS7_7AddReluELNS_25InMemoryDataOperationEnumE0ENS_16TensorDescriptorINS5_IJNS_5EmbedINS5_IJiiiEEESD_Lb0EEENS_11PassThroughIiEENS_3PadIiiiLb0EEESG_SG_NSC_INS5_IJiiEEESJ_Lb0EEESG_NS_23Merge_v2_magic_divisionISJ_EESM_NS_8RightPadIiiLb0EEESO_NS_7UnMergeISJ_Lb0EEESG_EEENS5_IJNS_8SequenceIJLi0EEEENSS_IJLi1EEEENSS_IJLi2EEEENSS_IJLi3EEEENSS_IJLi4EEEENSS_IJLi5EEEENSS_IJLi6EEEENSS_IJLi7ELi9EEEENSS_IJLi8ELi10EEEENSS_IJLi11EEEENSS_IJLi12EEEENSS_IJLi14EEEENSS_IJLi13EEEEEEENS5_IJNSS_IJLi1ELi2ELi3EEEESX_SY_SZ_NSS_IJLi7EEEENSS_IJLi8ELi9EEEENSS_IJLi10EEEES12_S13_S15_S14_NSS_IJLi15ELi16EEEENSS_IJLi17EEEEEEENSS_IJLi15ELi17ELi16EEEElEENSB_INS5_IJSQ_SO_SO_SQ_SG_EEENS5_IJST_SU_SV_SX_SW_EEENS5_IJNSS_IJLi1ELi2EEEESW_SX_NSS_IJLi5ELi6EEEES18_EEENSS_IJLi5ELi7ELi6EEEElEENSB_INS5_IJSK_SO_SO_EEENS5_IJST_SU_SV_EEENS5_IJS1I_SW_SX_EEENSS_IJLi3ELi4EEEElEELi128ELi128ELi16ELi2ELi4ELi4ELi1ENSS_IJLi8ELi2EEEES1S_NSS_IJLi8ELi1ELi1ELi2EEEENSS_IJLi2ELi1ELi128ELi1EEEENSS_IJLi1ELi2ELi0ELi3EEEES1V_NSS_IJLi4ELi1ELi1ELi2EEEES1V_NSS_IJLi1ELi1ELi1ELi2EEEES1T_S1U_S1V_S1V_S1W_S1V_S1X_NSS_IJLi0ELi1ELi2ELi3ELi4ELi5EEEELi5ELi4EEEDF16_NS5_IJPKDF16_EEEDF16_S8_S8_S9_NSB_INS5_IJSE_SG_SI_SG_SG_SK_SG_SM_SM_SO_SO_SQ_SG_SG_NSP_INS5_IJiNS_17integral_constantIiLi128EEEEEELb0EEENSF_INS23_IiLi2EEEEEEEENS5_IJST_SU_SV_SW_SX_SY_SZ_S10_S11_S12_S13_S14_S15_NSS_IJLi15EEEES1C_NSS_IJLi16EEEEEEENS5_IJS17_SX_SY_SZ_S18_S19_S1A_S12_S13_S15_S14_S1B_S1C_NSS_IJLi18EEEENSS_IJLi19ELi20EEEENSS_IJLi21EEEEEEENSS_IJLi18ELi19ELi20ELi21EEEElEENSB_INS5_IJSQ_SO_SO_SQ_SG_SG_S26_S28_EEENS5_IJST_SU_SV_SX_SW_SY_S18_SZ_EEENS5_IJS1I_SW_SX_S1J_S18_NSS_IJLi8EEEENSS_IJLi9ELi10EEEES12_EEENSS_IJLi8ELi9ELi10ELi11EEEElEENS5_IJNSB_INS5_IJSK_SO_SO_NSP_INS5_IJiS27_NS23_IiLi64EEEEEELb0EEES2S_EEENS5_IJST_SU_SV_SW_SX_EEENS5_IJS1I_SW_SX_NSS_IJLi5ELi6ELi7EEEENSS_IJLi8ELi9ELi10EEEEEEENSS_IJLi5ELi6ELi7ELi8ELi9ELi10EEEElEEEEES2Z_NS_31BlockToCTileMap_M00_N00_M01_N01ILi128ELi128ES1R_Lb0EEENS1_30ComputePtrOffsetOfStridedBatchILi1ELi1ELi1EvEELb1ELb0EEEvPKT0_S37_T1_PT2_T3_T4_T5_iT6_T7_T8_T9_T10_T11_.num_vgpr, 130
	.set _ZN2ck16tensor_operation6device12_GLOBAL__N_137kernel_grouped_conv_fwd_dl_multiple_dINS_32GridwiseGemmDlMultipleD_km_kn_mnILi256EDF16_fNS_5TupleIJDF16_EEEDF16_NS0_12element_wise11PassThroughES8_NS7_7AddReluELNS_25InMemoryDataOperationEnumE0ENS_16TensorDescriptorINS5_IJNS_5EmbedINS5_IJiiiEEESD_Lb0EEENS_11PassThroughIiEENS_3PadIiiiLb0EEESG_SG_NSC_INS5_IJiiEEESJ_Lb0EEESG_NS_23Merge_v2_magic_divisionISJ_EESM_NS_8RightPadIiiLb0EEESO_NS_7UnMergeISJ_Lb0EEESG_EEENS5_IJNS_8SequenceIJLi0EEEENSS_IJLi1EEEENSS_IJLi2EEEENSS_IJLi3EEEENSS_IJLi4EEEENSS_IJLi5EEEENSS_IJLi6EEEENSS_IJLi7ELi9EEEENSS_IJLi8ELi10EEEENSS_IJLi11EEEENSS_IJLi12EEEENSS_IJLi14EEEENSS_IJLi13EEEEEEENS5_IJNSS_IJLi1ELi2ELi3EEEESX_SY_SZ_NSS_IJLi7EEEENSS_IJLi8ELi9EEEENSS_IJLi10EEEES12_S13_S15_S14_NSS_IJLi15ELi16EEEENSS_IJLi17EEEEEEENSS_IJLi15ELi17ELi16EEEElEENSB_INS5_IJSQ_SO_SO_SQ_SG_EEENS5_IJST_SU_SV_SX_SW_EEENS5_IJNSS_IJLi1ELi2EEEESW_SX_NSS_IJLi5ELi6EEEES18_EEENSS_IJLi5ELi7ELi6EEEElEENSB_INS5_IJSK_SO_SO_EEENS5_IJST_SU_SV_EEENS5_IJS1I_SW_SX_EEENSS_IJLi3ELi4EEEElEELi128ELi128ELi16ELi2ELi4ELi4ELi1ENSS_IJLi8ELi2EEEES1S_NSS_IJLi8ELi1ELi1ELi2EEEENSS_IJLi2ELi1ELi128ELi1EEEENSS_IJLi1ELi2ELi0ELi3EEEES1V_NSS_IJLi4ELi1ELi1ELi2EEEES1V_NSS_IJLi1ELi1ELi1ELi2EEEES1T_S1U_S1V_S1V_S1W_S1V_S1X_NSS_IJLi0ELi1ELi2ELi3ELi4ELi5EEEELi5ELi4EEEDF16_NS5_IJPKDF16_EEEDF16_S8_S8_S9_NSB_INS5_IJSE_SG_SI_SG_SG_SK_SG_SM_SM_SO_SO_SQ_SG_SG_NSP_INS5_IJiNS_17integral_constantIiLi128EEEEEELb0EEENSF_INS23_IiLi2EEEEEEEENS5_IJST_SU_SV_SW_SX_SY_SZ_S10_S11_S12_S13_S14_S15_NSS_IJLi15EEEES1C_NSS_IJLi16EEEEEEENS5_IJS17_SX_SY_SZ_S18_S19_S1A_S12_S13_S15_S14_S1B_S1C_NSS_IJLi18EEEENSS_IJLi19ELi20EEEENSS_IJLi21EEEEEEENSS_IJLi18ELi19ELi20ELi21EEEElEENSB_INS5_IJSQ_SO_SO_SQ_SG_SG_S26_S28_EEENS5_IJST_SU_SV_SX_SW_SY_S18_SZ_EEENS5_IJS1I_SW_SX_S1J_S18_NSS_IJLi8EEEENSS_IJLi9ELi10EEEES12_EEENSS_IJLi8ELi9ELi10ELi11EEEElEENS5_IJNSB_INS5_IJSK_SO_SO_NSP_INS5_IJiS27_NS23_IiLi64EEEEEELb0EEES2S_EEENS5_IJST_SU_SV_SW_SX_EEENS5_IJS1I_SW_SX_NSS_IJLi5ELi6ELi7EEEENSS_IJLi8ELi9ELi10EEEEEEENSS_IJLi5ELi6ELi7ELi8ELi9ELi10EEEElEEEEES2Z_NS_31BlockToCTileMap_M00_N00_M01_N01ILi128ELi128ES1R_Lb0EEENS1_30ComputePtrOffsetOfStridedBatchILi1ELi1ELi1EvEELb1ELb0EEEvPKT0_S37_T1_PT2_T3_T4_T5_iT6_T7_T8_T9_T10_T11_.num_agpr, 0
	.set _ZN2ck16tensor_operation6device12_GLOBAL__N_137kernel_grouped_conv_fwd_dl_multiple_dINS_32GridwiseGemmDlMultipleD_km_kn_mnILi256EDF16_fNS_5TupleIJDF16_EEEDF16_NS0_12element_wise11PassThroughES8_NS7_7AddReluELNS_25InMemoryDataOperationEnumE0ENS_16TensorDescriptorINS5_IJNS_5EmbedINS5_IJiiiEEESD_Lb0EEENS_11PassThroughIiEENS_3PadIiiiLb0EEESG_SG_NSC_INS5_IJiiEEESJ_Lb0EEESG_NS_23Merge_v2_magic_divisionISJ_EESM_NS_8RightPadIiiLb0EEESO_NS_7UnMergeISJ_Lb0EEESG_EEENS5_IJNS_8SequenceIJLi0EEEENSS_IJLi1EEEENSS_IJLi2EEEENSS_IJLi3EEEENSS_IJLi4EEEENSS_IJLi5EEEENSS_IJLi6EEEENSS_IJLi7ELi9EEEENSS_IJLi8ELi10EEEENSS_IJLi11EEEENSS_IJLi12EEEENSS_IJLi14EEEENSS_IJLi13EEEEEEENS5_IJNSS_IJLi1ELi2ELi3EEEESX_SY_SZ_NSS_IJLi7EEEENSS_IJLi8ELi9EEEENSS_IJLi10EEEES12_S13_S15_S14_NSS_IJLi15ELi16EEEENSS_IJLi17EEEEEEENSS_IJLi15ELi17ELi16EEEElEENSB_INS5_IJSQ_SO_SO_SQ_SG_EEENS5_IJST_SU_SV_SX_SW_EEENS5_IJNSS_IJLi1ELi2EEEESW_SX_NSS_IJLi5ELi6EEEES18_EEENSS_IJLi5ELi7ELi6EEEElEENSB_INS5_IJSK_SO_SO_EEENS5_IJST_SU_SV_EEENS5_IJS1I_SW_SX_EEENSS_IJLi3ELi4EEEElEELi128ELi128ELi16ELi2ELi4ELi4ELi1ENSS_IJLi8ELi2EEEES1S_NSS_IJLi8ELi1ELi1ELi2EEEENSS_IJLi2ELi1ELi128ELi1EEEENSS_IJLi1ELi2ELi0ELi3EEEES1V_NSS_IJLi4ELi1ELi1ELi2EEEES1V_NSS_IJLi1ELi1ELi1ELi2EEEES1T_S1U_S1V_S1V_S1W_S1V_S1X_NSS_IJLi0ELi1ELi2ELi3ELi4ELi5EEEELi5ELi4EEEDF16_NS5_IJPKDF16_EEEDF16_S8_S8_S9_NSB_INS5_IJSE_SG_SI_SG_SG_SK_SG_SM_SM_SO_SO_SQ_SG_SG_NSP_INS5_IJiNS_17integral_constantIiLi128EEEEEELb0EEENSF_INS23_IiLi2EEEEEEEENS5_IJST_SU_SV_SW_SX_SY_SZ_S10_S11_S12_S13_S14_S15_NSS_IJLi15EEEES1C_NSS_IJLi16EEEEEEENS5_IJS17_SX_SY_SZ_S18_S19_S1A_S12_S13_S15_S14_S1B_S1C_NSS_IJLi18EEEENSS_IJLi19ELi20EEEENSS_IJLi21EEEEEEENSS_IJLi18ELi19ELi20ELi21EEEElEENSB_INS5_IJSQ_SO_SO_SQ_SG_SG_S26_S28_EEENS5_IJST_SU_SV_SX_SW_SY_S18_SZ_EEENS5_IJS1I_SW_SX_S1J_S18_NSS_IJLi8EEEENSS_IJLi9ELi10EEEES12_EEENSS_IJLi8ELi9ELi10ELi11EEEElEENS5_IJNSB_INS5_IJSK_SO_SO_NSP_INS5_IJiS27_NS23_IiLi64EEEEEELb0EEES2S_EEENS5_IJST_SU_SV_SW_SX_EEENS5_IJS1I_SW_SX_NSS_IJLi5ELi6ELi7EEEENSS_IJLi8ELi9ELi10EEEEEEENSS_IJLi5ELi6ELi7ELi8ELi9ELi10EEEElEEEEES2Z_NS_31BlockToCTileMap_M00_N00_M01_N01ILi128ELi128ES1R_Lb0EEENS1_30ComputePtrOffsetOfStridedBatchILi1ELi1ELi1EvEELb1ELb0EEEvPKT0_S37_T1_PT2_T3_T4_T5_iT6_T7_T8_T9_T10_T11_.numbered_sgpr, 60
	.set _ZN2ck16tensor_operation6device12_GLOBAL__N_137kernel_grouped_conv_fwd_dl_multiple_dINS_32GridwiseGemmDlMultipleD_km_kn_mnILi256EDF16_fNS_5TupleIJDF16_EEEDF16_NS0_12element_wise11PassThroughES8_NS7_7AddReluELNS_25InMemoryDataOperationEnumE0ENS_16TensorDescriptorINS5_IJNS_5EmbedINS5_IJiiiEEESD_Lb0EEENS_11PassThroughIiEENS_3PadIiiiLb0EEESG_SG_NSC_INS5_IJiiEEESJ_Lb0EEESG_NS_23Merge_v2_magic_divisionISJ_EESM_NS_8RightPadIiiLb0EEESO_NS_7UnMergeISJ_Lb0EEESG_EEENS5_IJNS_8SequenceIJLi0EEEENSS_IJLi1EEEENSS_IJLi2EEEENSS_IJLi3EEEENSS_IJLi4EEEENSS_IJLi5EEEENSS_IJLi6EEEENSS_IJLi7ELi9EEEENSS_IJLi8ELi10EEEENSS_IJLi11EEEENSS_IJLi12EEEENSS_IJLi14EEEENSS_IJLi13EEEEEEENS5_IJNSS_IJLi1ELi2ELi3EEEESX_SY_SZ_NSS_IJLi7EEEENSS_IJLi8ELi9EEEENSS_IJLi10EEEES12_S13_S15_S14_NSS_IJLi15ELi16EEEENSS_IJLi17EEEEEEENSS_IJLi15ELi17ELi16EEEElEENSB_INS5_IJSQ_SO_SO_SQ_SG_EEENS5_IJST_SU_SV_SX_SW_EEENS5_IJNSS_IJLi1ELi2EEEESW_SX_NSS_IJLi5ELi6EEEES18_EEENSS_IJLi5ELi7ELi6EEEElEENSB_INS5_IJSK_SO_SO_EEENS5_IJST_SU_SV_EEENS5_IJS1I_SW_SX_EEENSS_IJLi3ELi4EEEElEELi128ELi128ELi16ELi2ELi4ELi4ELi1ENSS_IJLi8ELi2EEEES1S_NSS_IJLi8ELi1ELi1ELi2EEEENSS_IJLi2ELi1ELi128ELi1EEEENSS_IJLi1ELi2ELi0ELi3EEEES1V_NSS_IJLi4ELi1ELi1ELi2EEEES1V_NSS_IJLi1ELi1ELi1ELi2EEEES1T_S1U_S1V_S1V_S1W_S1V_S1X_NSS_IJLi0ELi1ELi2ELi3ELi4ELi5EEEELi5ELi4EEEDF16_NS5_IJPKDF16_EEEDF16_S8_S8_S9_NSB_INS5_IJSE_SG_SI_SG_SG_SK_SG_SM_SM_SO_SO_SQ_SG_SG_NSP_INS5_IJiNS_17integral_constantIiLi128EEEEEELb0EEENSF_INS23_IiLi2EEEEEEEENS5_IJST_SU_SV_SW_SX_SY_SZ_S10_S11_S12_S13_S14_S15_NSS_IJLi15EEEES1C_NSS_IJLi16EEEEEEENS5_IJS17_SX_SY_SZ_S18_S19_S1A_S12_S13_S15_S14_S1B_S1C_NSS_IJLi18EEEENSS_IJLi19ELi20EEEENSS_IJLi21EEEEEEENSS_IJLi18ELi19ELi20ELi21EEEElEENSB_INS5_IJSQ_SO_SO_SQ_SG_SG_S26_S28_EEENS5_IJST_SU_SV_SX_SW_SY_S18_SZ_EEENS5_IJS1I_SW_SX_S1J_S18_NSS_IJLi8EEEENSS_IJLi9ELi10EEEES12_EEENSS_IJLi8ELi9ELi10ELi11EEEElEENS5_IJNSB_INS5_IJSK_SO_SO_NSP_INS5_IJiS27_NS23_IiLi64EEEEEELb0EEES2S_EEENS5_IJST_SU_SV_SW_SX_EEENS5_IJS1I_SW_SX_NSS_IJLi5ELi6ELi7EEEENSS_IJLi8ELi9ELi10EEEEEEENSS_IJLi5ELi6ELi7ELi8ELi9ELi10EEEElEEEEES2Z_NS_31BlockToCTileMap_M00_N00_M01_N01ILi128ELi128ES1R_Lb0EEENS1_30ComputePtrOffsetOfStridedBatchILi1ELi1ELi1EvEELb1ELb0EEEvPKT0_S37_T1_PT2_T3_T4_T5_iT6_T7_T8_T9_T10_T11_.num_named_barrier, 0
	.set _ZN2ck16tensor_operation6device12_GLOBAL__N_137kernel_grouped_conv_fwd_dl_multiple_dINS_32GridwiseGemmDlMultipleD_km_kn_mnILi256EDF16_fNS_5TupleIJDF16_EEEDF16_NS0_12element_wise11PassThroughES8_NS7_7AddReluELNS_25InMemoryDataOperationEnumE0ENS_16TensorDescriptorINS5_IJNS_5EmbedINS5_IJiiiEEESD_Lb0EEENS_11PassThroughIiEENS_3PadIiiiLb0EEESG_SG_NSC_INS5_IJiiEEESJ_Lb0EEESG_NS_23Merge_v2_magic_divisionISJ_EESM_NS_8RightPadIiiLb0EEESO_NS_7UnMergeISJ_Lb0EEESG_EEENS5_IJNS_8SequenceIJLi0EEEENSS_IJLi1EEEENSS_IJLi2EEEENSS_IJLi3EEEENSS_IJLi4EEEENSS_IJLi5EEEENSS_IJLi6EEEENSS_IJLi7ELi9EEEENSS_IJLi8ELi10EEEENSS_IJLi11EEEENSS_IJLi12EEEENSS_IJLi14EEEENSS_IJLi13EEEEEEENS5_IJNSS_IJLi1ELi2ELi3EEEESX_SY_SZ_NSS_IJLi7EEEENSS_IJLi8ELi9EEEENSS_IJLi10EEEES12_S13_S15_S14_NSS_IJLi15ELi16EEEENSS_IJLi17EEEEEEENSS_IJLi15ELi17ELi16EEEElEENSB_INS5_IJSQ_SO_SO_SQ_SG_EEENS5_IJST_SU_SV_SX_SW_EEENS5_IJNSS_IJLi1ELi2EEEESW_SX_NSS_IJLi5ELi6EEEES18_EEENSS_IJLi5ELi7ELi6EEEElEENSB_INS5_IJSK_SO_SO_EEENS5_IJST_SU_SV_EEENS5_IJS1I_SW_SX_EEENSS_IJLi3ELi4EEEElEELi128ELi128ELi16ELi2ELi4ELi4ELi1ENSS_IJLi8ELi2EEEES1S_NSS_IJLi8ELi1ELi1ELi2EEEENSS_IJLi2ELi1ELi128ELi1EEEENSS_IJLi1ELi2ELi0ELi3EEEES1V_NSS_IJLi4ELi1ELi1ELi2EEEES1V_NSS_IJLi1ELi1ELi1ELi2EEEES1T_S1U_S1V_S1V_S1W_S1V_S1X_NSS_IJLi0ELi1ELi2ELi3ELi4ELi5EEEELi5ELi4EEEDF16_NS5_IJPKDF16_EEEDF16_S8_S8_S9_NSB_INS5_IJSE_SG_SI_SG_SG_SK_SG_SM_SM_SO_SO_SQ_SG_SG_NSP_INS5_IJiNS_17integral_constantIiLi128EEEEEELb0EEENSF_INS23_IiLi2EEEEEEEENS5_IJST_SU_SV_SW_SX_SY_SZ_S10_S11_S12_S13_S14_S15_NSS_IJLi15EEEES1C_NSS_IJLi16EEEEEEENS5_IJS17_SX_SY_SZ_S18_S19_S1A_S12_S13_S15_S14_S1B_S1C_NSS_IJLi18EEEENSS_IJLi19ELi20EEEENSS_IJLi21EEEEEEENSS_IJLi18ELi19ELi20ELi21EEEElEENSB_INS5_IJSQ_SO_SO_SQ_SG_SG_S26_S28_EEENS5_IJST_SU_SV_SX_SW_SY_S18_SZ_EEENS5_IJS1I_SW_SX_S1J_S18_NSS_IJLi8EEEENSS_IJLi9ELi10EEEES12_EEENSS_IJLi8ELi9ELi10ELi11EEEElEENS5_IJNSB_INS5_IJSK_SO_SO_NSP_INS5_IJiS27_NS23_IiLi64EEEEEELb0EEES2S_EEENS5_IJST_SU_SV_SW_SX_EEENS5_IJS1I_SW_SX_NSS_IJLi5ELi6ELi7EEEENSS_IJLi8ELi9ELi10EEEEEEENSS_IJLi5ELi6ELi7ELi8ELi9ELi10EEEElEEEEES2Z_NS_31BlockToCTileMap_M00_N00_M01_N01ILi128ELi128ES1R_Lb0EEENS1_30ComputePtrOffsetOfStridedBatchILi1ELi1ELi1EvEELb1ELb0EEEvPKT0_S37_T1_PT2_T3_T4_T5_iT6_T7_T8_T9_T10_T11_.private_seg_size, 0
	.set _ZN2ck16tensor_operation6device12_GLOBAL__N_137kernel_grouped_conv_fwd_dl_multiple_dINS_32GridwiseGemmDlMultipleD_km_kn_mnILi256EDF16_fNS_5TupleIJDF16_EEEDF16_NS0_12element_wise11PassThroughES8_NS7_7AddReluELNS_25InMemoryDataOperationEnumE0ENS_16TensorDescriptorINS5_IJNS_5EmbedINS5_IJiiiEEESD_Lb0EEENS_11PassThroughIiEENS_3PadIiiiLb0EEESG_SG_NSC_INS5_IJiiEEESJ_Lb0EEESG_NS_23Merge_v2_magic_divisionISJ_EESM_NS_8RightPadIiiLb0EEESO_NS_7UnMergeISJ_Lb0EEESG_EEENS5_IJNS_8SequenceIJLi0EEEENSS_IJLi1EEEENSS_IJLi2EEEENSS_IJLi3EEEENSS_IJLi4EEEENSS_IJLi5EEEENSS_IJLi6EEEENSS_IJLi7ELi9EEEENSS_IJLi8ELi10EEEENSS_IJLi11EEEENSS_IJLi12EEEENSS_IJLi14EEEENSS_IJLi13EEEEEEENS5_IJNSS_IJLi1ELi2ELi3EEEESX_SY_SZ_NSS_IJLi7EEEENSS_IJLi8ELi9EEEENSS_IJLi10EEEES12_S13_S15_S14_NSS_IJLi15ELi16EEEENSS_IJLi17EEEEEEENSS_IJLi15ELi17ELi16EEEElEENSB_INS5_IJSQ_SO_SO_SQ_SG_EEENS5_IJST_SU_SV_SX_SW_EEENS5_IJNSS_IJLi1ELi2EEEESW_SX_NSS_IJLi5ELi6EEEES18_EEENSS_IJLi5ELi7ELi6EEEElEENSB_INS5_IJSK_SO_SO_EEENS5_IJST_SU_SV_EEENS5_IJS1I_SW_SX_EEENSS_IJLi3ELi4EEEElEELi128ELi128ELi16ELi2ELi4ELi4ELi1ENSS_IJLi8ELi2EEEES1S_NSS_IJLi8ELi1ELi1ELi2EEEENSS_IJLi2ELi1ELi128ELi1EEEENSS_IJLi1ELi2ELi0ELi3EEEES1V_NSS_IJLi4ELi1ELi1ELi2EEEES1V_NSS_IJLi1ELi1ELi1ELi2EEEES1T_S1U_S1V_S1V_S1W_S1V_S1X_NSS_IJLi0ELi1ELi2ELi3ELi4ELi5EEEELi5ELi4EEEDF16_NS5_IJPKDF16_EEEDF16_S8_S8_S9_NSB_INS5_IJSE_SG_SI_SG_SG_SK_SG_SM_SM_SO_SO_SQ_SG_SG_NSP_INS5_IJiNS_17integral_constantIiLi128EEEEEELb0EEENSF_INS23_IiLi2EEEEEEEENS5_IJST_SU_SV_SW_SX_SY_SZ_S10_S11_S12_S13_S14_S15_NSS_IJLi15EEEES1C_NSS_IJLi16EEEEEEENS5_IJS17_SX_SY_SZ_S18_S19_S1A_S12_S13_S15_S14_S1B_S1C_NSS_IJLi18EEEENSS_IJLi19ELi20EEEENSS_IJLi21EEEEEEENSS_IJLi18ELi19ELi20ELi21EEEElEENSB_INS5_IJSQ_SO_SO_SQ_SG_SG_S26_S28_EEENS5_IJST_SU_SV_SX_SW_SY_S18_SZ_EEENS5_IJS1I_SW_SX_S1J_S18_NSS_IJLi8EEEENSS_IJLi9ELi10EEEES12_EEENSS_IJLi8ELi9ELi10ELi11EEEElEENS5_IJNSB_INS5_IJSK_SO_SO_NSP_INS5_IJiS27_NS23_IiLi64EEEEEELb0EEES2S_EEENS5_IJST_SU_SV_SW_SX_EEENS5_IJS1I_SW_SX_NSS_IJLi5ELi6ELi7EEEENSS_IJLi8ELi9ELi10EEEEEEENSS_IJLi5ELi6ELi7ELi8ELi9ELi10EEEElEEEEES2Z_NS_31BlockToCTileMap_M00_N00_M01_N01ILi128ELi128ES1R_Lb0EEENS1_30ComputePtrOffsetOfStridedBatchILi1ELi1ELi1EvEELb1ELb0EEEvPKT0_S37_T1_PT2_T3_T4_T5_iT6_T7_T8_T9_T10_T11_.uses_vcc, 1
	.set _ZN2ck16tensor_operation6device12_GLOBAL__N_137kernel_grouped_conv_fwd_dl_multiple_dINS_32GridwiseGemmDlMultipleD_km_kn_mnILi256EDF16_fNS_5TupleIJDF16_EEEDF16_NS0_12element_wise11PassThroughES8_NS7_7AddReluELNS_25InMemoryDataOperationEnumE0ENS_16TensorDescriptorINS5_IJNS_5EmbedINS5_IJiiiEEESD_Lb0EEENS_11PassThroughIiEENS_3PadIiiiLb0EEESG_SG_NSC_INS5_IJiiEEESJ_Lb0EEESG_NS_23Merge_v2_magic_divisionISJ_EESM_NS_8RightPadIiiLb0EEESO_NS_7UnMergeISJ_Lb0EEESG_EEENS5_IJNS_8SequenceIJLi0EEEENSS_IJLi1EEEENSS_IJLi2EEEENSS_IJLi3EEEENSS_IJLi4EEEENSS_IJLi5EEEENSS_IJLi6EEEENSS_IJLi7ELi9EEEENSS_IJLi8ELi10EEEENSS_IJLi11EEEENSS_IJLi12EEEENSS_IJLi14EEEENSS_IJLi13EEEEEEENS5_IJNSS_IJLi1ELi2ELi3EEEESX_SY_SZ_NSS_IJLi7EEEENSS_IJLi8ELi9EEEENSS_IJLi10EEEES12_S13_S15_S14_NSS_IJLi15ELi16EEEENSS_IJLi17EEEEEEENSS_IJLi15ELi17ELi16EEEElEENSB_INS5_IJSQ_SO_SO_SQ_SG_EEENS5_IJST_SU_SV_SX_SW_EEENS5_IJNSS_IJLi1ELi2EEEESW_SX_NSS_IJLi5ELi6EEEES18_EEENSS_IJLi5ELi7ELi6EEEElEENSB_INS5_IJSK_SO_SO_EEENS5_IJST_SU_SV_EEENS5_IJS1I_SW_SX_EEENSS_IJLi3ELi4EEEElEELi128ELi128ELi16ELi2ELi4ELi4ELi1ENSS_IJLi8ELi2EEEES1S_NSS_IJLi8ELi1ELi1ELi2EEEENSS_IJLi2ELi1ELi128ELi1EEEENSS_IJLi1ELi2ELi0ELi3EEEES1V_NSS_IJLi4ELi1ELi1ELi2EEEES1V_NSS_IJLi1ELi1ELi1ELi2EEEES1T_S1U_S1V_S1V_S1W_S1V_S1X_NSS_IJLi0ELi1ELi2ELi3ELi4ELi5EEEELi5ELi4EEEDF16_NS5_IJPKDF16_EEEDF16_S8_S8_S9_NSB_INS5_IJSE_SG_SI_SG_SG_SK_SG_SM_SM_SO_SO_SQ_SG_SG_NSP_INS5_IJiNS_17integral_constantIiLi128EEEEEELb0EEENSF_INS23_IiLi2EEEEEEEENS5_IJST_SU_SV_SW_SX_SY_SZ_S10_S11_S12_S13_S14_S15_NSS_IJLi15EEEES1C_NSS_IJLi16EEEEEEENS5_IJS17_SX_SY_SZ_S18_S19_S1A_S12_S13_S15_S14_S1B_S1C_NSS_IJLi18EEEENSS_IJLi19ELi20EEEENSS_IJLi21EEEEEEENSS_IJLi18ELi19ELi20ELi21EEEElEENSB_INS5_IJSQ_SO_SO_SQ_SG_SG_S26_S28_EEENS5_IJST_SU_SV_SX_SW_SY_S18_SZ_EEENS5_IJS1I_SW_SX_S1J_S18_NSS_IJLi8EEEENSS_IJLi9ELi10EEEES12_EEENSS_IJLi8ELi9ELi10ELi11EEEElEENS5_IJNSB_INS5_IJSK_SO_SO_NSP_INS5_IJiS27_NS23_IiLi64EEEEEELb0EEES2S_EEENS5_IJST_SU_SV_SW_SX_EEENS5_IJS1I_SW_SX_NSS_IJLi5ELi6ELi7EEEENSS_IJLi8ELi9ELi10EEEEEEENSS_IJLi5ELi6ELi7ELi8ELi9ELi10EEEElEEEEES2Z_NS_31BlockToCTileMap_M00_N00_M01_N01ILi128ELi128ES1R_Lb0EEENS1_30ComputePtrOffsetOfStridedBatchILi1ELi1ELi1EvEELb1ELb0EEEvPKT0_S37_T1_PT2_T3_T4_T5_iT6_T7_T8_T9_T10_T11_.uses_flat_scratch, 0
	.set _ZN2ck16tensor_operation6device12_GLOBAL__N_137kernel_grouped_conv_fwd_dl_multiple_dINS_32GridwiseGemmDlMultipleD_km_kn_mnILi256EDF16_fNS_5TupleIJDF16_EEEDF16_NS0_12element_wise11PassThroughES8_NS7_7AddReluELNS_25InMemoryDataOperationEnumE0ENS_16TensorDescriptorINS5_IJNS_5EmbedINS5_IJiiiEEESD_Lb0EEENS_11PassThroughIiEENS_3PadIiiiLb0EEESG_SG_NSC_INS5_IJiiEEESJ_Lb0EEESG_NS_23Merge_v2_magic_divisionISJ_EESM_NS_8RightPadIiiLb0EEESO_NS_7UnMergeISJ_Lb0EEESG_EEENS5_IJNS_8SequenceIJLi0EEEENSS_IJLi1EEEENSS_IJLi2EEEENSS_IJLi3EEEENSS_IJLi4EEEENSS_IJLi5EEEENSS_IJLi6EEEENSS_IJLi7ELi9EEEENSS_IJLi8ELi10EEEENSS_IJLi11EEEENSS_IJLi12EEEENSS_IJLi14EEEENSS_IJLi13EEEEEEENS5_IJNSS_IJLi1ELi2ELi3EEEESX_SY_SZ_NSS_IJLi7EEEENSS_IJLi8ELi9EEEENSS_IJLi10EEEES12_S13_S15_S14_NSS_IJLi15ELi16EEEENSS_IJLi17EEEEEEENSS_IJLi15ELi17ELi16EEEElEENSB_INS5_IJSQ_SO_SO_SQ_SG_EEENS5_IJST_SU_SV_SX_SW_EEENS5_IJNSS_IJLi1ELi2EEEESW_SX_NSS_IJLi5ELi6EEEES18_EEENSS_IJLi5ELi7ELi6EEEElEENSB_INS5_IJSK_SO_SO_EEENS5_IJST_SU_SV_EEENS5_IJS1I_SW_SX_EEENSS_IJLi3ELi4EEEElEELi128ELi128ELi16ELi2ELi4ELi4ELi1ENSS_IJLi8ELi2EEEES1S_NSS_IJLi8ELi1ELi1ELi2EEEENSS_IJLi2ELi1ELi128ELi1EEEENSS_IJLi1ELi2ELi0ELi3EEEES1V_NSS_IJLi4ELi1ELi1ELi2EEEES1V_NSS_IJLi1ELi1ELi1ELi2EEEES1T_S1U_S1V_S1V_S1W_S1V_S1X_NSS_IJLi0ELi1ELi2ELi3ELi4ELi5EEEELi5ELi4EEEDF16_NS5_IJPKDF16_EEEDF16_S8_S8_S9_NSB_INS5_IJSE_SG_SI_SG_SG_SK_SG_SM_SM_SO_SO_SQ_SG_SG_NSP_INS5_IJiNS_17integral_constantIiLi128EEEEEELb0EEENSF_INS23_IiLi2EEEEEEEENS5_IJST_SU_SV_SW_SX_SY_SZ_S10_S11_S12_S13_S14_S15_NSS_IJLi15EEEES1C_NSS_IJLi16EEEEEEENS5_IJS17_SX_SY_SZ_S18_S19_S1A_S12_S13_S15_S14_S1B_S1C_NSS_IJLi18EEEENSS_IJLi19ELi20EEEENSS_IJLi21EEEEEEENSS_IJLi18ELi19ELi20ELi21EEEElEENSB_INS5_IJSQ_SO_SO_SQ_SG_SG_S26_S28_EEENS5_IJST_SU_SV_SX_SW_SY_S18_SZ_EEENS5_IJS1I_SW_SX_S1J_S18_NSS_IJLi8EEEENSS_IJLi9ELi10EEEES12_EEENSS_IJLi8ELi9ELi10ELi11EEEElEENS5_IJNSB_INS5_IJSK_SO_SO_NSP_INS5_IJiS27_NS23_IiLi64EEEEEELb0EEES2S_EEENS5_IJST_SU_SV_SW_SX_EEENS5_IJS1I_SW_SX_NSS_IJLi5ELi6ELi7EEEENSS_IJLi8ELi9ELi10EEEEEEENSS_IJLi5ELi6ELi7ELi8ELi9ELi10EEEElEEEEES2Z_NS_31BlockToCTileMap_M00_N00_M01_N01ILi128ELi128ES1R_Lb0EEENS1_30ComputePtrOffsetOfStridedBatchILi1ELi1ELi1EvEELb1ELb0EEEvPKT0_S37_T1_PT2_T3_T4_T5_iT6_T7_T8_T9_T10_T11_.has_dyn_sized_stack, 0
	.set _ZN2ck16tensor_operation6device12_GLOBAL__N_137kernel_grouped_conv_fwd_dl_multiple_dINS_32GridwiseGemmDlMultipleD_km_kn_mnILi256EDF16_fNS_5TupleIJDF16_EEEDF16_NS0_12element_wise11PassThroughES8_NS7_7AddReluELNS_25InMemoryDataOperationEnumE0ENS_16TensorDescriptorINS5_IJNS_5EmbedINS5_IJiiiEEESD_Lb0EEENS_11PassThroughIiEENS_3PadIiiiLb0EEESG_SG_NSC_INS5_IJiiEEESJ_Lb0EEESG_NS_23Merge_v2_magic_divisionISJ_EESM_NS_8RightPadIiiLb0EEESO_NS_7UnMergeISJ_Lb0EEESG_EEENS5_IJNS_8SequenceIJLi0EEEENSS_IJLi1EEEENSS_IJLi2EEEENSS_IJLi3EEEENSS_IJLi4EEEENSS_IJLi5EEEENSS_IJLi6EEEENSS_IJLi7ELi9EEEENSS_IJLi8ELi10EEEENSS_IJLi11EEEENSS_IJLi12EEEENSS_IJLi14EEEENSS_IJLi13EEEEEEENS5_IJNSS_IJLi1ELi2ELi3EEEESX_SY_SZ_NSS_IJLi7EEEENSS_IJLi8ELi9EEEENSS_IJLi10EEEES12_S13_S15_S14_NSS_IJLi15ELi16EEEENSS_IJLi17EEEEEEENSS_IJLi15ELi17ELi16EEEElEENSB_INS5_IJSQ_SO_SO_SQ_SG_EEENS5_IJST_SU_SV_SX_SW_EEENS5_IJNSS_IJLi1ELi2EEEESW_SX_NSS_IJLi5ELi6EEEES18_EEENSS_IJLi5ELi7ELi6EEEElEENSB_INS5_IJSK_SO_SO_EEENS5_IJST_SU_SV_EEENS5_IJS1I_SW_SX_EEENSS_IJLi3ELi4EEEElEELi128ELi128ELi16ELi2ELi4ELi4ELi1ENSS_IJLi8ELi2EEEES1S_NSS_IJLi8ELi1ELi1ELi2EEEENSS_IJLi2ELi1ELi128ELi1EEEENSS_IJLi1ELi2ELi0ELi3EEEES1V_NSS_IJLi4ELi1ELi1ELi2EEEES1V_NSS_IJLi1ELi1ELi1ELi2EEEES1T_S1U_S1V_S1V_S1W_S1V_S1X_NSS_IJLi0ELi1ELi2ELi3ELi4ELi5EEEELi5ELi4EEEDF16_NS5_IJPKDF16_EEEDF16_S8_S8_S9_NSB_INS5_IJSE_SG_SI_SG_SG_SK_SG_SM_SM_SO_SO_SQ_SG_SG_NSP_INS5_IJiNS_17integral_constantIiLi128EEEEEELb0EEENSF_INS23_IiLi2EEEEEEEENS5_IJST_SU_SV_SW_SX_SY_SZ_S10_S11_S12_S13_S14_S15_NSS_IJLi15EEEES1C_NSS_IJLi16EEEEEEENS5_IJS17_SX_SY_SZ_S18_S19_S1A_S12_S13_S15_S14_S1B_S1C_NSS_IJLi18EEEENSS_IJLi19ELi20EEEENSS_IJLi21EEEEEEENSS_IJLi18ELi19ELi20ELi21EEEElEENSB_INS5_IJSQ_SO_SO_SQ_SG_SG_S26_S28_EEENS5_IJST_SU_SV_SX_SW_SY_S18_SZ_EEENS5_IJS1I_SW_SX_S1J_S18_NSS_IJLi8EEEENSS_IJLi9ELi10EEEES12_EEENSS_IJLi8ELi9ELi10ELi11EEEElEENS5_IJNSB_INS5_IJSK_SO_SO_NSP_INS5_IJiS27_NS23_IiLi64EEEEEELb0EEES2S_EEENS5_IJST_SU_SV_SW_SX_EEENS5_IJS1I_SW_SX_NSS_IJLi5ELi6ELi7EEEENSS_IJLi8ELi9ELi10EEEEEEENSS_IJLi5ELi6ELi7ELi8ELi9ELi10EEEElEEEEES2Z_NS_31BlockToCTileMap_M00_N00_M01_N01ILi128ELi128ES1R_Lb0EEENS1_30ComputePtrOffsetOfStridedBatchILi1ELi1ELi1EvEELb1ELb0EEEvPKT0_S37_T1_PT2_T3_T4_T5_iT6_T7_T8_T9_T10_T11_.has_recursion, 0
	.set _ZN2ck16tensor_operation6device12_GLOBAL__N_137kernel_grouped_conv_fwd_dl_multiple_dINS_32GridwiseGemmDlMultipleD_km_kn_mnILi256EDF16_fNS_5TupleIJDF16_EEEDF16_NS0_12element_wise11PassThroughES8_NS7_7AddReluELNS_25InMemoryDataOperationEnumE0ENS_16TensorDescriptorINS5_IJNS_5EmbedINS5_IJiiiEEESD_Lb0EEENS_11PassThroughIiEENS_3PadIiiiLb0EEESG_SG_NSC_INS5_IJiiEEESJ_Lb0EEESG_NS_23Merge_v2_magic_divisionISJ_EESM_NS_8RightPadIiiLb0EEESO_NS_7UnMergeISJ_Lb0EEESG_EEENS5_IJNS_8SequenceIJLi0EEEENSS_IJLi1EEEENSS_IJLi2EEEENSS_IJLi3EEEENSS_IJLi4EEEENSS_IJLi5EEEENSS_IJLi6EEEENSS_IJLi7ELi9EEEENSS_IJLi8ELi10EEEENSS_IJLi11EEEENSS_IJLi12EEEENSS_IJLi14EEEENSS_IJLi13EEEEEEENS5_IJNSS_IJLi1ELi2ELi3EEEESX_SY_SZ_NSS_IJLi7EEEENSS_IJLi8ELi9EEEENSS_IJLi10EEEES12_S13_S15_S14_NSS_IJLi15ELi16EEEENSS_IJLi17EEEEEEENSS_IJLi15ELi17ELi16EEEElEENSB_INS5_IJSQ_SO_SO_SQ_SG_EEENS5_IJST_SU_SV_SX_SW_EEENS5_IJNSS_IJLi1ELi2EEEESW_SX_NSS_IJLi5ELi6EEEES18_EEENSS_IJLi5ELi7ELi6EEEElEENSB_INS5_IJSK_SO_SO_EEENS5_IJST_SU_SV_EEENS5_IJS1I_SW_SX_EEENSS_IJLi3ELi4EEEElEELi128ELi128ELi16ELi2ELi4ELi4ELi1ENSS_IJLi8ELi2EEEES1S_NSS_IJLi8ELi1ELi1ELi2EEEENSS_IJLi2ELi1ELi128ELi1EEEENSS_IJLi1ELi2ELi0ELi3EEEES1V_NSS_IJLi4ELi1ELi1ELi2EEEES1V_NSS_IJLi1ELi1ELi1ELi2EEEES1T_S1U_S1V_S1V_S1W_S1V_S1X_NSS_IJLi0ELi1ELi2ELi3ELi4ELi5EEEELi5ELi4EEEDF16_NS5_IJPKDF16_EEEDF16_S8_S8_S9_NSB_INS5_IJSE_SG_SI_SG_SG_SK_SG_SM_SM_SO_SO_SQ_SG_SG_NSP_INS5_IJiNS_17integral_constantIiLi128EEEEEELb0EEENSF_INS23_IiLi2EEEEEEEENS5_IJST_SU_SV_SW_SX_SY_SZ_S10_S11_S12_S13_S14_S15_NSS_IJLi15EEEES1C_NSS_IJLi16EEEEEEENS5_IJS17_SX_SY_SZ_S18_S19_S1A_S12_S13_S15_S14_S1B_S1C_NSS_IJLi18EEEENSS_IJLi19ELi20EEEENSS_IJLi21EEEEEEENSS_IJLi18ELi19ELi20ELi21EEEElEENSB_INS5_IJSQ_SO_SO_SQ_SG_SG_S26_S28_EEENS5_IJST_SU_SV_SX_SW_SY_S18_SZ_EEENS5_IJS1I_SW_SX_S1J_S18_NSS_IJLi8EEEENSS_IJLi9ELi10EEEES12_EEENSS_IJLi8ELi9ELi10ELi11EEEElEENS5_IJNSB_INS5_IJSK_SO_SO_NSP_INS5_IJiS27_NS23_IiLi64EEEEEELb0EEES2S_EEENS5_IJST_SU_SV_SW_SX_EEENS5_IJS1I_SW_SX_NSS_IJLi5ELi6ELi7EEEENSS_IJLi8ELi9ELi10EEEEEEENSS_IJLi5ELi6ELi7ELi8ELi9ELi10EEEElEEEEES2Z_NS_31BlockToCTileMap_M00_N00_M01_N01ILi128ELi128ES1R_Lb0EEENS1_30ComputePtrOffsetOfStridedBatchILi1ELi1ELi1EvEELb1ELb0EEEvPKT0_S37_T1_PT2_T3_T4_T5_iT6_T7_T8_T9_T10_T11_.has_indirect_call, 0
	.section	.AMDGPU.csdata,"",@progbits
; Kernel info:
; codeLenInByte = 20036
; TotalNumSgprs: 66
; NumVgprs: 130
; NumAgprs: 0
; TotalNumVgprs: 130
; ScratchSize: 0
; MemoryBound: 0
; FloatMode: 240
; IeeeMode: 1
; LDSByteSize: 32768 bytes/workgroup (compile time only)
; SGPRBlocks: 12
; VGPRBlocks: 16
; NumSGPRsForWavesPerEU: 102
; NumVGPRsForWavesPerEU: 130
; AccumOffset: 132
; Occupancy: 3
; WaveLimiterHint : 0
; COMPUTE_PGM_RSRC2:SCRATCH_EN: 0
; COMPUTE_PGM_RSRC2:USER_SGPR: 2
; COMPUTE_PGM_RSRC2:TRAP_HANDLER: 0
; COMPUTE_PGM_RSRC2:TGID_X_EN: 1
; COMPUTE_PGM_RSRC2:TGID_Y_EN: 0
; COMPUTE_PGM_RSRC2:TGID_Z_EN: 0
; COMPUTE_PGM_RSRC2:TIDIG_COMP_CNT: 0
; COMPUTE_PGM_RSRC3_GFX90A:ACCUM_OFFSET: 32
; COMPUTE_PGM_RSRC3_GFX90A:TG_SPLIT: 0
	.section	.text._ZN2ck16tensor_operation6device12_GLOBAL__N_137kernel_grouped_conv_fwd_dl_multiple_dINS_32GridwiseGemmDlMultipleD_km_kn_mnILi256EDF16_fNS_5TupleIJDF16_EEEDF16_NS0_12element_wise11PassThroughES8_NS7_7AddReluELNS_25InMemoryDataOperationEnumE0ENS_16TensorDescriptorINS5_IJNS_5EmbedINS5_IJiiiEEESD_Lb0EEENS_11PassThroughIiEENS_3PadIiiiLb0EEESG_SG_NSC_INS5_IJiiEEESJ_Lb0EEESG_NS_23Merge_v2_magic_divisionISJ_EESM_NS_8RightPadIiiLb0EEESO_NS_7UnMergeISJ_Lb0EEESG_EEENS5_IJNS_8SequenceIJLi0EEEENSS_IJLi1EEEENSS_IJLi2EEEENSS_IJLi3EEEENSS_IJLi4EEEENSS_IJLi5EEEENSS_IJLi6EEEENSS_IJLi7ELi9EEEENSS_IJLi8ELi10EEEENSS_IJLi11EEEENSS_IJLi12EEEENSS_IJLi14EEEENSS_IJLi13EEEEEEENS5_IJNSS_IJLi1ELi2ELi3EEEESX_SY_SZ_NSS_IJLi7EEEENSS_IJLi8ELi9EEEENSS_IJLi10EEEES12_S13_S15_S14_NSS_IJLi15ELi16EEEENSS_IJLi17EEEEEEENSS_IJLi15ELi17ELi16EEEElEENSB_INS5_IJSQ_SO_SO_SQ_SG_EEENS5_IJST_SU_SV_SX_SW_EEENS5_IJNSS_IJLi1ELi2EEEESW_SX_NSS_IJLi5ELi6EEEES18_EEENSS_IJLi5ELi7ELi6EEEElEENSB_INS5_IJSK_SO_SO_EEENS5_IJST_SU_SV_EEENS5_IJS1I_SW_SX_EEENSS_IJLi3ELi4EEEElEELi128ELi128ELi16ELi2ELi4ELi4ELi1ENSS_IJLi8ELi2EEEES1S_NSS_IJLi8ELi1ELi1ELi2EEEENSS_IJLi2ELi1ELi128ELi1EEEENSS_IJLi1ELi2ELi0ELi3EEEES1V_NSS_IJLi4ELi1ELi1ELi2EEEES1V_NSS_IJLi1ELi1ELi1ELi2EEEES1T_S1U_S1V_S1V_S1W_S1V_S1X_NSS_IJLi0ELi1ELi2ELi3ELi4ELi5EEEELi5ELi4EEEDF16_NS5_IJPKDF16_EEEDF16_S8_S8_S9_NSB_INS5_IJSE_SG_SI_SG_SG_SK_SG_SM_SM_SO_SO_SQ_SG_SG_NSP_INS5_IJiNS_17integral_constantIiLi128EEEEEELb0EEENSF_INS23_IiLi2EEEEEEEENS5_IJST_SU_SV_SW_SX_SY_SZ_S10_S11_S12_S13_S14_S15_NSS_IJLi15EEEES1C_NSS_IJLi16EEEEEEENS5_IJS17_SX_SY_SZ_S18_S19_S1A_S12_S13_S15_S14_S1B_S1C_NSS_IJLi18EEEENSS_IJLi19ELi20EEEENSS_IJLi21EEEEEEENSS_IJLi18ELi19ELi20ELi21EEEElEENSB_INS5_IJSQ_SO_SO_SQ_SG_SG_S26_S28_EEENS5_IJST_SU_SV_SX_SW_SY_S18_SZ_EEENS5_IJS1I_SW_SX_S1J_S18_NSS_IJLi8EEEENSS_IJLi9ELi10EEEES12_EEENSS_IJLi8ELi9ELi10ELi11EEEElEENS5_IJNSB_INS5_IJSK_SO_SO_NSP_INS5_IJiS27_NS23_IiLi64EEEEEELb0EEES2S_EEENS5_IJST_SU_SV_SW_SX_EEENS5_IJS1I_SW_SX_NSS_IJLi5ELi6ELi7EEEENSS_IJLi8ELi9ELi10EEEEEEENSS_IJLi5ELi6ELi7ELi8ELi9ELi10EEEElEEEEES2Z_NS_31BlockToCTileMap_M00_N00_M01_N01ILi128ELi128ES1R_Lb0EEENS1_30ComputePtrOffsetOfStridedBatchILi1ELi1ELi1EvEELb0ELb1EEEvPKT0_S37_T1_PT2_T3_T4_T5_iT6_T7_T8_T9_T10_T11_,"axG",@progbits,_ZN2ck16tensor_operation6device12_GLOBAL__N_137kernel_grouped_conv_fwd_dl_multiple_dINS_32GridwiseGemmDlMultipleD_km_kn_mnILi256EDF16_fNS_5TupleIJDF16_EEEDF16_NS0_12element_wise11PassThroughES8_NS7_7AddReluELNS_25InMemoryDataOperationEnumE0ENS_16TensorDescriptorINS5_IJNS_5EmbedINS5_IJiiiEEESD_Lb0EEENS_11PassThroughIiEENS_3PadIiiiLb0EEESG_SG_NSC_INS5_IJiiEEESJ_Lb0EEESG_NS_23Merge_v2_magic_divisionISJ_EESM_NS_8RightPadIiiLb0EEESO_NS_7UnMergeISJ_Lb0EEESG_EEENS5_IJNS_8SequenceIJLi0EEEENSS_IJLi1EEEENSS_IJLi2EEEENSS_IJLi3EEEENSS_IJLi4EEEENSS_IJLi5EEEENSS_IJLi6EEEENSS_IJLi7ELi9EEEENSS_IJLi8ELi10EEEENSS_IJLi11EEEENSS_IJLi12EEEENSS_IJLi14EEEENSS_IJLi13EEEEEEENS5_IJNSS_IJLi1ELi2ELi3EEEESX_SY_SZ_NSS_IJLi7EEEENSS_IJLi8ELi9EEEENSS_IJLi10EEEES12_S13_S15_S14_NSS_IJLi15ELi16EEEENSS_IJLi17EEEEEEENSS_IJLi15ELi17ELi16EEEElEENSB_INS5_IJSQ_SO_SO_SQ_SG_EEENS5_IJST_SU_SV_SX_SW_EEENS5_IJNSS_IJLi1ELi2EEEESW_SX_NSS_IJLi5ELi6EEEES18_EEENSS_IJLi5ELi7ELi6EEEElEENSB_INS5_IJSK_SO_SO_EEENS5_IJST_SU_SV_EEENS5_IJS1I_SW_SX_EEENSS_IJLi3ELi4EEEElEELi128ELi128ELi16ELi2ELi4ELi4ELi1ENSS_IJLi8ELi2EEEES1S_NSS_IJLi8ELi1ELi1ELi2EEEENSS_IJLi2ELi1ELi128ELi1EEEENSS_IJLi1ELi2ELi0ELi3EEEES1V_NSS_IJLi4ELi1ELi1ELi2EEEES1V_NSS_IJLi1ELi1ELi1ELi2EEEES1T_S1U_S1V_S1V_S1W_S1V_S1X_NSS_IJLi0ELi1ELi2ELi3ELi4ELi5EEEELi5ELi4EEEDF16_NS5_IJPKDF16_EEEDF16_S8_S8_S9_NSB_INS5_IJSE_SG_SI_SG_SG_SK_SG_SM_SM_SO_SO_SQ_SG_SG_NSP_INS5_IJiNS_17integral_constantIiLi128EEEEEELb0EEENSF_INS23_IiLi2EEEEEEEENS5_IJST_SU_SV_SW_SX_SY_SZ_S10_S11_S12_S13_S14_S15_NSS_IJLi15EEEES1C_NSS_IJLi16EEEEEEENS5_IJS17_SX_SY_SZ_S18_S19_S1A_S12_S13_S15_S14_S1B_S1C_NSS_IJLi18EEEENSS_IJLi19ELi20EEEENSS_IJLi21EEEEEEENSS_IJLi18ELi19ELi20ELi21EEEElEENSB_INS5_IJSQ_SO_SO_SQ_SG_SG_S26_S28_EEENS5_IJST_SU_SV_SX_SW_SY_S18_SZ_EEENS5_IJS1I_SW_SX_S1J_S18_NSS_IJLi8EEEENSS_IJLi9ELi10EEEES12_EEENSS_IJLi8ELi9ELi10ELi11EEEElEENS5_IJNSB_INS5_IJSK_SO_SO_NSP_INS5_IJiS27_NS23_IiLi64EEEEEELb0EEES2S_EEENS5_IJST_SU_SV_SW_SX_EEENS5_IJS1I_SW_SX_NSS_IJLi5ELi6ELi7EEEENSS_IJLi8ELi9ELi10EEEEEEENSS_IJLi5ELi6ELi7ELi8ELi9ELi10EEEElEEEEES2Z_NS_31BlockToCTileMap_M00_N00_M01_N01ILi128ELi128ES1R_Lb0EEENS1_30ComputePtrOffsetOfStridedBatchILi1ELi1ELi1EvEELb0ELb1EEEvPKT0_S37_T1_PT2_T3_T4_T5_iT6_T7_T8_T9_T10_T11_,comdat
	.globl	_ZN2ck16tensor_operation6device12_GLOBAL__N_137kernel_grouped_conv_fwd_dl_multiple_dINS_32GridwiseGemmDlMultipleD_km_kn_mnILi256EDF16_fNS_5TupleIJDF16_EEEDF16_NS0_12element_wise11PassThroughES8_NS7_7AddReluELNS_25InMemoryDataOperationEnumE0ENS_16TensorDescriptorINS5_IJNS_5EmbedINS5_IJiiiEEESD_Lb0EEENS_11PassThroughIiEENS_3PadIiiiLb0EEESG_SG_NSC_INS5_IJiiEEESJ_Lb0EEESG_NS_23Merge_v2_magic_divisionISJ_EESM_NS_8RightPadIiiLb0EEESO_NS_7UnMergeISJ_Lb0EEESG_EEENS5_IJNS_8SequenceIJLi0EEEENSS_IJLi1EEEENSS_IJLi2EEEENSS_IJLi3EEEENSS_IJLi4EEEENSS_IJLi5EEEENSS_IJLi6EEEENSS_IJLi7ELi9EEEENSS_IJLi8ELi10EEEENSS_IJLi11EEEENSS_IJLi12EEEENSS_IJLi14EEEENSS_IJLi13EEEEEEENS5_IJNSS_IJLi1ELi2ELi3EEEESX_SY_SZ_NSS_IJLi7EEEENSS_IJLi8ELi9EEEENSS_IJLi10EEEES12_S13_S15_S14_NSS_IJLi15ELi16EEEENSS_IJLi17EEEEEEENSS_IJLi15ELi17ELi16EEEElEENSB_INS5_IJSQ_SO_SO_SQ_SG_EEENS5_IJST_SU_SV_SX_SW_EEENS5_IJNSS_IJLi1ELi2EEEESW_SX_NSS_IJLi5ELi6EEEES18_EEENSS_IJLi5ELi7ELi6EEEElEENSB_INS5_IJSK_SO_SO_EEENS5_IJST_SU_SV_EEENS5_IJS1I_SW_SX_EEENSS_IJLi3ELi4EEEElEELi128ELi128ELi16ELi2ELi4ELi4ELi1ENSS_IJLi8ELi2EEEES1S_NSS_IJLi8ELi1ELi1ELi2EEEENSS_IJLi2ELi1ELi128ELi1EEEENSS_IJLi1ELi2ELi0ELi3EEEES1V_NSS_IJLi4ELi1ELi1ELi2EEEES1V_NSS_IJLi1ELi1ELi1ELi2EEEES1T_S1U_S1V_S1V_S1W_S1V_S1X_NSS_IJLi0ELi1ELi2ELi3ELi4ELi5EEEELi5ELi4EEEDF16_NS5_IJPKDF16_EEEDF16_S8_S8_S9_NSB_INS5_IJSE_SG_SI_SG_SG_SK_SG_SM_SM_SO_SO_SQ_SG_SG_NSP_INS5_IJiNS_17integral_constantIiLi128EEEEEELb0EEENSF_INS23_IiLi2EEEEEEEENS5_IJST_SU_SV_SW_SX_SY_SZ_S10_S11_S12_S13_S14_S15_NSS_IJLi15EEEES1C_NSS_IJLi16EEEEEEENS5_IJS17_SX_SY_SZ_S18_S19_S1A_S12_S13_S15_S14_S1B_S1C_NSS_IJLi18EEEENSS_IJLi19ELi20EEEENSS_IJLi21EEEEEEENSS_IJLi18ELi19ELi20ELi21EEEElEENSB_INS5_IJSQ_SO_SO_SQ_SG_SG_S26_S28_EEENS5_IJST_SU_SV_SX_SW_SY_S18_SZ_EEENS5_IJS1I_SW_SX_S1J_S18_NSS_IJLi8EEEENSS_IJLi9ELi10EEEES12_EEENSS_IJLi8ELi9ELi10ELi11EEEElEENS5_IJNSB_INS5_IJSK_SO_SO_NSP_INS5_IJiS27_NS23_IiLi64EEEEEELb0EEES2S_EEENS5_IJST_SU_SV_SW_SX_EEENS5_IJS1I_SW_SX_NSS_IJLi5ELi6ELi7EEEENSS_IJLi8ELi9ELi10EEEEEEENSS_IJLi5ELi6ELi7ELi8ELi9ELi10EEEElEEEEES2Z_NS_31BlockToCTileMap_M00_N00_M01_N01ILi128ELi128ES1R_Lb0EEENS1_30ComputePtrOffsetOfStridedBatchILi1ELi1ELi1EvEELb0ELb1EEEvPKT0_S37_T1_PT2_T3_T4_T5_iT6_T7_T8_T9_T10_T11_ ; -- Begin function _ZN2ck16tensor_operation6device12_GLOBAL__N_137kernel_grouped_conv_fwd_dl_multiple_dINS_32GridwiseGemmDlMultipleD_km_kn_mnILi256EDF16_fNS_5TupleIJDF16_EEEDF16_NS0_12element_wise11PassThroughES8_NS7_7AddReluELNS_25InMemoryDataOperationEnumE0ENS_16TensorDescriptorINS5_IJNS_5EmbedINS5_IJiiiEEESD_Lb0EEENS_11PassThroughIiEENS_3PadIiiiLb0EEESG_SG_NSC_INS5_IJiiEEESJ_Lb0EEESG_NS_23Merge_v2_magic_divisionISJ_EESM_NS_8RightPadIiiLb0EEESO_NS_7UnMergeISJ_Lb0EEESG_EEENS5_IJNS_8SequenceIJLi0EEEENSS_IJLi1EEEENSS_IJLi2EEEENSS_IJLi3EEEENSS_IJLi4EEEENSS_IJLi5EEEENSS_IJLi6EEEENSS_IJLi7ELi9EEEENSS_IJLi8ELi10EEEENSS_IJLi11EEEENSS_IJLi12EEEENSS_IJLi14EEEENSS_IJLi13EEEEEEENS5_IJNSS_IJLi1ELi2ELi3EEEESX_SY_SZ_NSS_IJLi7EEEENSS_IJLi8ELi9EEEENSS_IJLi10EEEES12_S13_S15_S14_NSS_IJLi15ELi16EEEENSS_IJLi17EEEEEEENSS_IJLi15ELi17ELi16EEEElEENSB_INS5_IJSQ_SO_SO_SQ_SG_EEENS5_IJST_SU_SV_SX_SW_EEENS5_IJNSS_IJLi1ELi2EEEESW_SX_NSS_IJLi5ELi6EEEES18_EEENSS_IJLi5ELi7ELi6EEEElEENSB_INS5_IJSK_SO_SO_EEENS5_IJST_SU_SV_EEENS5_IJS1I_SW_SX_EEENSS_IJLi3ELi4EEEElEELi128ELi128ELi16ELi2ELi4ELi4ELi1ENSS_IJLi8ELi2EEEES1S_NSS_IJLi8ELi1ELi1ELi2EEEENSS_IJLi2ELi1ELi128ELi1EEEENSS_IJLi1ELi2ELi0ELi3EEEES1V_NSS_IJLi4ELi1ELi1ELi2EEEES1V_NSS_IJLi1ELi1ELi1ELi2EEEES1T_S1U_S1V_S1V_S1W_S1V_S1X_NSS_IJLi0ELi1ELi2ELi3ELi4ELi5EEEELi5ELi4EEEDF16_NS5_IJPKDF16_EEEDF16_S8_S8_S9_NSB_INS5_IJSE_SG_SI_SG_SG_SK_SG_SM_SM_SO_SO_SQ_SG_SG_NSP_INS5_IJiNS_17integral_constantIiLi128EEEEEELb0EEENSF_INS23_IiLi2EEEEEEEENS5_IJST_SU_SV_SW_SX_SY_SZ_S10_S11_S12_S13_S14_S15_NSS_IJLi15EEEES1C_NSS_IJLi16EEEEEEENS5_IJS17_SX_SY_SZ_S18_S19_S1A_S12_S13_S15_S14_S1B_S1C_NSS_IJLi18EEEENSS_IJLi19ELi20EEEENSS_IJLi21EEEEEEENSS_IJLi18ELi19ELi20ELi21EEEElEENSB_INS5_IJSQ_SO_SO_SQ_SG_SG_S26_S28_EEENS5_IJST_SU_SV_SX_SW_SY_S18_SZ_EEENS5_IJS1I_SW_SX_S1J_S18_NSS_IJLi8EEEENSS_IJLi9ELi10EEEES12_EEENSS_IJLi8ELi9ELi10ELi11EEEElEENS5_IJNSB_INS5_IJSK_SO_SO_NSP_INS5_IJiS27_NS23_IiLi64EEEEEELb0EEES2S_EEENS5_IJST_SU_SV_SW_SX_EEENS5_IJS1I_SW_SX_NSS_IJLi5ELi6ELi7EEEENSS_IJLi8ELi9ELi10EEEEEEENSS_IJLi5ELi6ELi7ELi8ELi9ELi10EEEElEEEEES2Z_NS_31BlockToCTileMap_M00_N00_M01_N01ILi128ELi128ES1R_Lb0EEENS1_30ComputePtrOffsetOfStridedBatchILi1ELi1ELi1EvEELb0ELb1EEEvPKT0_S37_T1_PT2_T3_T4_T5_iT6_T7_T8_T9_T10_T11_
	.p2align	8
	.type	_ZN2ck16tensor_operation6device12_GLOBAL__N_137kernel_grouped_conv_fwd_dl_multiple_dINS_32GridwiseGemmDlMultipleD_km_kn_mnILi256EDF16_fNS_5TupleIJDF16_EEEDF16_NS0_12element_wise11PassThroughES8_NS7_7AddReluELNS_25InMemoryDataOperationEnumE0ENS_16TensorDescriptorINS5_IJNS_5EmbedINS5_IJiiiEEESD_Lb0EEENS_11PassThroughIiEENS_3PadIiiiLb0EEESG_SG_NSC_INS5_IJiiEEESJ_Lb0EEESG_NS_23Merge_v2_magic_divisionISJ_EESM_NS_8RightPadIiiLb0EEESO_NS_7UnMergeISJ_Lb0EEESG_EEENS5_IJNS_8SequenceIJLi0EEEENSS_IJLi1EEEENSS_IJLi2EEEENSS_IJLi3EEEENSS_IJLi4EEEENSS_IJLi5EEEENSS_IJLi6EEEENSS_IJLi7ELi9EEEENSS_IJLi8ELi10EEEENSS_IJLi11EEEENSS_IJLi12EEEENSS_IJLi14EEEENSS_IJLi13EEEEEEENS5_IJNSS_IJLi1ELi2ELi3EEEESX_SY_SZ_NSS_IJLi7EEEENSS_IJLi8ELi9EEEENSS_IJLi10EEEES12_S13_S15_S14_NSS_IJLi15ELi16EEEENSS_IJLi17EEEEEEENSS_IJLi15ELi17ELi16EEEElEENSB_INS5_IJSQ_SO_SO_SQ_SG_EEENS5_IJST_SU_SV_SX_SW_EEENS5_IJNSS_IJLi1ELi2EEEESW_SX_NSS_IJLi5ELi6EEEES18_EEENSS_IJLi5ELi7ELi6EEEElEENSB_INS5_IJSK_SO_SO_EEENS5_IJST_SU_SV_EEENS5_IJS1I_SW_SX_EEENSS_IJLi3ELi4EEEElEELi128ELi128ELi16ELi2ELi4ELi4ELi1ENSS_IJLi8ELi2EEEES1S_NSS_IJLi8ELi1ELi1ELi2EEEENSS_IJLi2ELi1ELi128ELi1EEEENSS_IJLi1ELi2ELi0ELi3EEEES1V_NSS_IJLi4ELi1ELi1ELi2EEEES1V_NSS_IJLi1ELi1ELi1ELi2EEEES1T_S1U_S1V_S1V_S1W_S1V_S1X_NSS_IJLi0ELi1ELi2ELi3ELi4ELi5EEEELi5ELi4EEEDF16_NS5_IJPKDF16_EEEDF16_S8_S8_S9_NSB_INS5_IJSE_SG_SI_SG_SG_SK_SG_SM_SM_SO_SO_SQ_SG_SG_NSP_INS5_IJiNS_17integral_constantIiLi128EEEEEELb0EEENSF_INS23_IiLi2EEEEEEEENS5_IJST_SU_SV_SW_SX_SY_SZ_S10_S11_S12_S13_S14_S15_NSS_IJLi15EEEES1C_NSS_IJLi16EEEEEEENS5_IJS17_SX_SY_SZ_S18_S19_S1A_S12_S13_S15_S14_S1B_S1C_NSS_IJLi18EEEENSS_IJLi19ELi20EEEENSS_IJLi21EEEEEEENSS_IJLi18ELi19ELi20ELi21EEEElEENSB_INS5_IJSQ_SO_SO_SQ_SG_SG_S26_S28_EEENS5_IJST_SU_SV_SX_SW_SY_S18_SZ_EEENS5_IJS1I_SW_SX_S1J_S18_NSS_IJLi8EEEENSS_IJLi9ELi10EEEES12_EEENSS_IJLi8ELi9ELi10ELi11EEEElEENS5_IJNSB_INS5_IJSK_SO_SO_NSP_INS5_IJiS27_NS23_IiLi64EEEEEELb0EEES2S_EEENS5_IJST_SU_SV_SW_SX_EEENS5_IJS1I_SW_SX_NSS_IJLi5ELi6ELi7EEEENSS_IJLi8ELi9ELi10EEEEEEENSS_IJLi5ELi6ELi7ELi8ELi9ELi10EEEElEEEEES2Z_NS_31BlockToCTileMap_M00_N00_M01_N01ILi128ELi128ES1R_Lb0EEENS1_30ComputePtrOffsetOfStridedBatchILi1ELi1ELi1EvEELb0ELb1EEEvPKT0_S37_T1_PT2_T3_T4_T5_iT6_T7_T8_T9_T10_T11_,@function
_ZN2ck16tensor_operation6device12_GLOBAL__N_137kernel_grouped_conv_fwd_dl_multiple_dINS_32GridwiseGemmDlMultipleD_km_kn_mnILi256EDF16_fNS_5TupleIJDF16_EEEDF16_NS0_12element_wise11PassThroughES8_NS7_7AddReluELNS_25InMemoryDataOperationEnumE0ENS_16TensorDescriptorINS5_IJNS_5EmbedINS5_IJiiiEEESD_Lb0EEENS_11PassThroughIiEENS_3PadIiiiLb0EEESG_SG_NSC_INS5_IJiiEEESJ_Lb0EEESG_NS_23Merge_v2_magic_divisionISJ_EESM_NS_8RightPadIiiLb0EEESO_NS_7UnMergeISJ_Lb0EEESG_EEENS5_IJNS_8SequenceIJLi0EEEENSS_IJLi1EEEENSS_IJLi2EEEENSS_IJLi3EEEENSS_IJLi4EEEENSS_IJLi5EEEENSS_IJLi6EEEENSS_IJLi7ELi9EEEENSS_IJLi8ELi10EEEENSS_IJLi11EEEENSS_IJLi12EEEENSS_IJLi14EEEENSS_IJLi13EEEEEEENS5_IJNSS_IJLi1ELi2ELi3EEEESX_SY_SZ_NSS_IJLi7EEEENSS_IJLi8ELi9EEEENSS_IJLi10EEEES12_S13_S15_S14_NSS_IJLi15ELi16EEEENSS_IJLi17EEEEEEENSS_IJLi15ELi17ELi16EEEElEENSB_INS5_IJSQ_SO_SO_SQ_SG_EEENS5_IJST_SU_SV_SX_SW_EEENS5_IJNSS_IJLi1ELi2EEEESW_SX_NSS_IJLi5ELi6EEEES18_EEENSS_IJLi5ELi7ELi6EEEElEENSB_INS5_IJSK_SO_SO_EEENS5_IJST_SU_SV_EEENS5_IJS1I_SW_SX_EEENSS_IJLi3ELi4EEEElEELi128ELi128ELi16ELi2ELi4ELi4ELi1ENSS_IJLi8ELi2EEEES1S_NSS_IJLi8ELi1ELi1ELi2EEEENSS_IJLi2ELi1ELi128ELi1EEEENSS_IJLi1ELi2ELi0ELi3EEEES1V_NSS_IJLi4ELi1ELi1ELi2EEEES1V_NSS_IJLi1ELi1ELi1ELi2EEEES1T_S1U_S1V_S1V_S1W_S1V_S1X_NSS_IJLi0ELi1ELi2ELi3ELi4ELi5EEEELi5ELi4EEEDF16_NS5_IJPKDF16_EEEDF16_S8_S8_S9_NSB_INS5_IJSE_SG_SI_SG_SG_SK_SG_SM_SM_SO_SO_SQ_SG_SG_NSP_INS5_IJiNS_17integral_constantIiLi128EEEEEELb0EEENSF_INS23_IiLi2EEEEEEEENS5_IJST_SU_SV_SW_SX_SY_SZ_S10_S11_S12_S13_S14_S15_NSS_IJLi15EEEES1C_NSS_IJLi16EEEEEEENS5_IJS17_SX_SY_SZ_S18_S19_S1A_S12_S13_S15_S14_S1B_S1C_NSS_IJLi18EEEENSS_IJLi19ELi20EEEENSS_IJLi21EEEEEEENSS_IJLi18ELi19ELi20ELi21EEEElEENSB_INS5_IJSQ_SO_SO_SQ_SG_SG_S26_S28_EEENS5_IJST_SU_SV_SX_SW_SY_S18_SZ_EEENS5_IJS1I_SW_SX_S1J_S18_NSS_IJLi8EEEENSS_IJLi9ELi10EEEES12_EEENSS_IJLi8ELi9ELi10ELi11EEEElEENS5_IJNSB_INS5_IJSK_SO_SO_NSP_INS5_IJiS27_NS23_IiLi64EEEEEELb0EEES2S_EEENS5_IJST_SU_SV_SW_SX_EEENS5_IJS1I_SW_SX_NSS_IJLi5ELi6ELi7EEEENSS_IJLi8ELi9ELi10EEEEEEENSS_IJLi5ELi6ELi7ELi8ELi9ELi10EEEElEEEEES2Z_NS_31BlockToCTileMap_M00_N00_M01_N01ILi128ELi128ES1R_Lb0EEENS1_30ComputePtrOffsetOfStridedBatchILi1ELi1ELi1EvEELb0ELb1EEEvPKT0_S37_T1_PT2_T3_T4_T5_iT6_T7_T8_T9_T10_T11_: ; @_ZN2ck16tensor_operation6device12_GLOBAL__N_137kernel_grouped_conv_fwd_dl_multiple_dINS_32GridwiseGemmDlMultipleD_km_kn_mnILi256EDF16_fNS_5TupleIJDF16_EEEDF16_NS0_12element_wise11PassThroughES8_NS7_7AddReluELNS_25InMemoryDataOperationEnumE0ENS_16TensorDescriptorINS5_IJNS_5EmbedINS5_IJiiiEEESD_Lb0EEENS_11PassThroughIiEENS_3PadIiiiLb0EEESG_SG_NSC_INS5_IJiiEEESJ_Lb0EEESG_NS_23Merge_v2_magic_divisionISJ_EESM_NS_8RightPadIiiLb0EEESO_NS_7UnMergeISJ_Lb0EEESG_EEENS5_IJNS_8SequenceIJLi0EEEENSS_IJLi1EEEENSS_IJLi2EEEENSS_IJLi3EEEENSS_IJLi4EEEENSS_IJLi5EEEENSS_IJLi6EEEENSS_IJLi7ELi9EEEENSS_IJLi8ELi10EEEENSS_IJLi11EEEENSS_IJLi12EEEENSS_IJLi14EEEENSS_IJLi13EEEEEEENS5_IJNSS_IJLi1ELi2ELi3EEEESX_SY_SZ_NSS_IJLi7EEEENSS_IJLi8ELi9EEEENSS_IJLi10EEEES12_S13_S15_S14_NSS_IJLi15ELi16EEEENSS_IJLi17EEEEEEENSS_IJLi15ELi17ELi16EEEElEENSB_INS5_IJSQ_SO_SO_SQ_SG_EEENS5_IJST_SU_SV_SX_SW_EEENS5_IJNSS_IJLi1ELi2EEEESW_SX_NSS_IJLi5ELi6EEEES18_EEENSS_IJLi5ELi7ELi6EEEElEENSB_INS5_IJSK_SO_SO_EEENS5_IJST_SU_SV_EEENS5_IJS1I_SW_SX_EEENSS_IJLi3ELi4EEEElEELi128ELi128ELi16ELi2ELi4ELi4ELi1ENSS_IJLi8ELi2EEEES1S_NSS_IJLi8ELi1ELi1ELi2EEEENSS_IJLi2ELi1ELi128ELi1EEEENSS_IJLi1ELi2ELi0ELi3EEEES1V_NSS_IJLi4ELi1ELi1ELi2EEEES1V_NSS_IJLi1ELi1ELi1ELi2EEEES1T_S1U_S1V_S1V_S1W_S1V_S1X_NSS_IJLi0ELi1ELi2ELi3ELi4ELi5EEEELi5ELi4EEEDF16_NS5_IJPKDF16_EEEDF16_S8_S8_S9_NSB_INS5_IJSE_SG_SI_SG_SG_SK_SG_SM_SM_SO_SO_SQ_SG_SG_NSP_INS5_IJiNS_17integral_constantIiLi128EEEEEELb0EEENSF_INS23_IiLi2EEEEEEEENS5_IJST_SU_SV_SW_SX_SY_SZ_S10_S11_S12_S13_S14_S15_NSS_IJLi15EEEES1C_NSS_IJLi16EEEEEEENS5_IJS17_SX_SY_SZ_S18_S19_S1A_S12_S13_S15_S14_S1B_S1C_NSS_IJLi18EEEENSS_IJLi19ELi20EEEENSS_IJLi21EEEEEEENSS_IJLi18ELi19ELi20ELi21EEEElEENSB_INS5_IJSQ_SO_SO_SQ_SG_SG_S26_S28_EEENS5_IJST_SU_SV_SX_SW_SY_S18_SZ_EEENS5_IJS1I_SW_SX_S1J_S18_NSS_IJLi8EEEENSS_IJLi9ELi10EEEES12_EEENSS_IJLi8ELi9ELi10ELi11EEEElEENS5_IJNSB_INS5_IJSK_SO_SO_NSP_INS5_IJiS27_NS23_IiLi64EEEEEELb0EEES2S_EEENS5_IJST_SU_SV_SW_SX_EEENS5_IJS1I_SW_SX_NSS_IJLi5ELi6ELi7EEEENSS_IJLi8ELi9ELi10EEEEEEENSS_IJLi5ELi6ELi7ELi8ELi9ELi10EEEElEEEEES2Z_NS_31BlockToCTileMap_M00_N00_M01_N01ILi128ELi128ES1R_Lb0EEENS1_30ComputePtrOffsetOfStridedBatchILi1ELi1ELi1EvEELb0ELb1EEEvPKT0_S37_T1_PT2_T3_T4_T5_iT6_T7_T8_T9_T10_T11_
; %bb.0:
	s_load_dwordx8 s[16:23], s[0:1], 0x0
	s_load_dword s4, s[0:1], 0x24
	s_load_dwordx8 s[8:15], s[0:1], 0x34
	s_load_dword s47, s[0:1], 0x48
	s_load_dwordx2 s[44:45], s[0:1], 0x60
	s_load_dword s55, s[0:1], 0x70
	s_load_dword s60, s[0:1], 0x78
	;; [unrolled: 1-line block ×6, first 2 shown]
	s_waitcnt lgkmcnt(0)
	s_abs_i32 s5, s4
	v_cvt_f32_u32_e32 v1, s5
	s_load_dword s52, s[0:1], 0xc4
	s_load_dword s62, s[0:1], 0xe8
	;; [unrolled: 1-line block ×7, first 2 shown]
	s_sub_i32 s7, 0, s5
	s_load_dword s3, s[0:1], 0x148
	s_load_dwordx2 s[34:35], s[0:1], 0x158
	s_load_dword s13, s[0:1], 0x164
	s_load_dword s33, s[0:1], 0x170
	;; [unrolled: 1-line block ×3, first 2 shown]
	v_rcp_iflag_f32_e32 v1, v1
	v_lshlrev_b32_e32 v2, 3, v0
	s_waitcnt lgkmcnt(0)
	s_xor_b32 s4, s6, s4
	s_abs_i32 s6, s6
	v_mul_f32_e32 v1, 0x4f7ffffe, v1
	v_cvt_u32_f32_e32 v1, v1
	s_ashr_i32 s4, s4, 31
	v_and_b32_e32 v21, 8, v2
	v_mul_lo_u32 v23, s52, v21
	v_readfirstlane_b32 s15, v1
	s_mul_i32 s7, s7, s15
	s_mul_hi_u32 s7, s15, s7
	s_add_i32 s15, s15, s7
	s_mul_hi_u32 s7, s6, s15
	s_mul_i32 s15, s7, s5
	s_sub_i32 s6, s6, s15
	s_add_i32 s15, s7, 1
	s_sub_i32 s24, s6, s5
	s_cmp_ge_u32 s6, s5
	s_cselect_b32 s7, s15, s7
	s_cselect_b32 s6, s24, s6
	s_add_i32 s15, s7, 1
	s_cmp_ge_u32 s6, s5
	s_cselect_b32 s5, s15, s7
	s_xor_b32 s5, s5, s4
	s_sub_i32 s15, s5, s4
	s_abs_i32 s56, s15
	v_cvt_f32_u32_e32 v1, s56
	s_load_dword s63, s[0:1], 0x204
	s_load_dword s64, s[0:1], 0x214
	s_load_dwordx8 s[24:31], s[0:1], 0x224
	s_waitcnt lgkmcnt(0)
	s_sub_i32 s27, 0, s56
	s_abs_i32 s25, s2
	v_rcp_iflag_f32_e32 v1, v1
	s_xor_b32 s15, s2, s15
	s_ashr_i32 s15, s15, 31
	s_load_dwordx4 s[4:7], s[0:1], 0x248
	s_load_dwordx8 s[36:43], s[0:1], 0x260
	v_mul_f32_e32 v1, 0x4f7ffffe, v1
	v_cvt_u32_f32_e32 v1, v1
	v_mul_hi_u32 v2, v23, s50
	v_add_u32_e32 v2, v23, v2
	v_lshrrev_b32_e32 v6, s49, v2
	v_readfirstlane_b32 s57, v1
	s_mul_i32 s27, s27, s57
	s_mul_hi_u32 s27, s57, s27
	s_add_i32 s57, s57, s27
	s_mul_hi_u32 s27, s25, s57
	s_mul_i32 s57, s27, s56
	s_sub_i32 s25, s25, s57
	s_add_i32 s57, s27, 1
	s_sub_i32 s58, s25, s56
	s_cmp_ge_u32 s25, s56
	s_cselect_b32 s27, s57, s27
	s_cselect_b32 s25, s58, s25
	s_add_i32 s57, s27, 1
	s_cmp_ge_u32 s25, s56
	s_cselect_b32 s25, s57, s27
	s_xor_b32 s25, s25, s15
	s_sub_i32 s15, s25, s15
	s_ashr_i32 s25, s15, 31
	s_waitcnt lgkmcnt(0)
	s_mul_i32 s27, s36, s25
	s_mul_hi_u32 s56, s36, s15
	s_add_i32 s27, s56, s27
	s_mul_i32 s37, s37, s15
	s_add_i32 s37, s27, s37
	s_mul_i32 s27, s38, s25
	s_mul_hi_u32 s56, s38, s15
	s_add_i32 s27, s56, s27
	s_mul_i32 s39, s39, s15
	s_add_i32 s39, s27, s39
	;; [unrolled: 5-line block ×4, first 2 shown]
	s_mul_i32 s40, s40, s15
	s_lshl_b64 s[40:41], s[40:41], 1
	s_mul_i32 s36, s36, s15
	s_add_u32 s20, s20, s40
	s_addc_u32 s21, s21, s41
	s_lshl_b64 s[36:37], s[36:37], 1
	s_mul_i32 s38, s38, s15
	s_add_u32 s36, s16, s36
	s_addc_u32 s25, s17, s37
	;; [unrolled: 4-line block ×3, first 2 shown]
	s_lshl_b64 s[16:17], s[42:43], 1
	s_add_u32 s16, s22, s16
	s_addc_u32 s15, s23, s17
	s_mul_hi_u32 s17, s31, s2
	s_add_i32 s17, s2, s17
	s_lshr_b32 s7, s17, s7
	s_mul_hi_u32 s17, s7, s30
	s_add_i32 s17, s7, s17
	s_lshr_b32 s6, s17, s6
	s_mul_hi_u32 s17, s6, s29
	s_load_dwordx4 s[56:59], s[0:1], 0x220
	s_add_i32 s17, s6, s17
	s_lshr_b32 s5, s17, s5
	s_mul_i32 s18, s7, s26
	s_sub_i32 s2, s2, s18
	s_mul_hi_u32 s18, s5, s28
	s_add_i32 s18, s5, s18
	s_lshr_b32 s4, s18, s4
	s_mul_i32 s17, s5, s24
	s_waitcnt lgkmcnt(0)
	s_mul_i32 s4, s4, s56
	s_sub_i32 s17, s6, s17
	s_mul_i32 s6, s6, s58
	s_sub_i32 s4, s5, s4
	s_sub_i32 s5, s7, s6
	s_mul_i32 s4, s4, s63
	s_mul_i32 s17, s17, s64
	s_add_i32 s5, s5, s4
	s_add_i32 s2, s2, s17
	v_lshrrev_b32_e32 v1, 1, v0
	s_lshl_b32 s17, s5, 7
	v_or_b32_e32 v22, s17, v1
	v_mul_lo_u32 v2, v6, s48
	v_sub_u32_e32 v7, v23, v2
	v_mul_hi_u32 v2, v22, s60
	v_add_u32_e32 v3, v22, v2
	v_lshrrev_b32_e32 v3, s61, v3
	v_mul_lo_u32 v4, v3, s55
	v_mul_lo_u32 v2, v6, s44
	v_sub_u32_e32 v4, v22, v4
	v_mad_u64_u32 v[18:19], s[4:5], v4, s45, v[2:3]
	v_mul_lo_u32 v3, v3, s8
	s_lshl_b32 s8, s52, 2
	v_add_u32_e32 v24, s8, v23
	v_mul_hi_u32 v9, v24, s50
	v_subrev_u32_e32 v2, s47, v18
	v_add_u32_e32 v9, v24, v9
	v_mul_lo_u32 v2, v2, s9
	v_mul_lo_u32 v4, v7, s10
	v_lshrrev_b32_e32 v70, s49, v9
	v_add3_u32 v8, v3, v4, v2
	v_mul_lo_u32 v9, v70, s48
	s_lshl_b32 s38, s62, 1
	s_and_b32 s37, s25, 0xffff
	s_mov_b32 s39, 0x20000
	v_lshlrev_b32_e32 v2, 1, v8
	v_sub_u32_e32 v71, v24, v9
	v_sub_u32_e32 v6, v70, v6
	buffer_load_dwordx4 v[2:5], v2, s[36:39], 0 offen
	v_sub_u32_e32 v7, v71, v7
	v_mul_lo_u32 v25, v6, s44
	v_mul_lo_u32 v6, v25, s9
	;; [unrolled: 1-line block ×3, first 2 shown]
	s_lshl_b32 s18, s2, 7
	v_add3_u32 v72, v7, v6, v8
	v_or_b32_e32 v19, s18, v1
	v_mul_lo_u32 v20, s51, v21
	v_lshlrev_b32_e32 v6, 1, v72
	buffer_load_dwordx4 v[6:9], v6, s[36:39], 0 offen
	v_mad_u64_u32 v[14:15], s[4:5], v19, s54, v[20:21]
	s_lshl_b32 s42, s3, 1
	s_and_b32 s41, s19, 0xffff
	s_mov_b32 s43, s39
	v_lshlrev_b32_e32 v10, 1, v14
	s_lshl_b32 s19, s51, 2
	buffer_load_dwordx4 v[10:13], v10, s[40:43], 0 offen
	v_add_u32_e32 v69, s19, v14
	v_lshlrev_b32_e32 v14, 1, v69
	buffer_load_dwordx4 v[14:17], v14, s[40:43], 0 offen
	s_load_dword s2, s[0:1], 0xa8
	s_load_dword s22, s[0:1], 0xb4
	s_sub_i32 s12, s12, s14
	v_lshrrev_b32_e32 v26, 5, v0
	v_lshlrev_b32_e32 v28, 1, v0
	v_cmp_gt_i32_e64 s[6:7], s12, v18
	s_waitcnt lgkmcnt(0)
	v_cmp_gt_i32_e32 vcc, s22, v23
	v_lshlrev_b32_e32 v27, 6, v26
	v_and_b32_e32 v29, 0x1f8, v28
	v_cmp_le_i32_e64 s[4:5], s47, v18
	s_and_b64 s[6:7], s[6:7], vcc
	v_sub_u32_e32 v27, v29, v27
	v_lshlrev_b32_e32 v0, 2, v0
	v_cmp_gt_i32_e64 s[2:3], s2, v22
	s_and_b64 s[4:5], s[6:7], s[4:5]
	v_and_or_b32 v64, v0, 4, v27
	v_lshlrev_b32_e32 v0, 3, v26
	s_and_b64 vcc, s[2:3], s[4:5]
	v_add_u32_e32 v74, v18, v25
	v_and_or_b32 v65, v28, 4, v0
	v_cmp_gt_i32_e64 s[6:7], s12, v74
	v_cmp_le_i32_e64 s[4:5], s47, v74
	v_add_u32_e32 v73, s19, v20
	v_lshlrev_b32_e32 v1, 2, v1
	v_lshl_or_b32 v68, v21, 9, v1
	v_lshlrev_b32_e32 v66, 2, v65
	v_lshlrev_b32_e32 v67, 2, v64
	v_mov_b32_e32 v62, 0
	v_mov_b32_e32 v63, 0
	v_mov_b32_e32 v60, 0
	v_mov_b32_e32 v61, 0
	v_mov_b32_e32 v50, 0
	v_mov_b32_e32 v51, 0
	v_mov_b32_e32 v48, 0
	v_mov_b32_e32 v49, 0
	v_mov_b32_e32 v46, 0
	v_mov_b32_e32 v47, 0
	v_mov_b32_e32 v42, 0
	v_mov_b32_e32 v43, 0
	v_mov_b32_e32 v28, 0
	v_mov_b32_e32 v29, 0
	v_mov_b32_e32 v26, 0
	v_mov_b32_e32 v27, 0
	v_mov_b32_e32 v58, 0
	v_mov_b32_e32 v59, 0
	v_mov_b32_e32 v56, 0
	v_mov_b32_e32 v57, 0
	v_mov_b32_e32 v54, 0
	v_mov_b32_e32 v55, 0
	v_mov_b32_e32 v52, 0
	v_mov_b32_e32 v53, 0
	v_mov_b32_e32 v44, 0
	v_mov_b32_e32 v45, 0
	v_mov_b32_e32 v40, 0
	v_mov_b32_e32 v41, 0
	v_mov_b32_e32 v38, 0
	v_mov_b32_e32 v39, 0
	v_mov_b32_e32 v36, 0
	v_mov_b32_e32 v37, 0
	s_waitcnt vmcnt(3)
	v_cndmask_b32_e32 v0, 0, v5, vcc
	v_cndmask_b32_e32 v4, 0, v4, vcc
	;; [unrolled: 1-line block ×4, first 2 shown]
	v_cmp_gt_i32_e32 vcc, s22, v24
	s_and_b64 s[6:7], s[6:7], vcc
	s_and_b64 s[4:5], s[6:7], s[4:5]
	s_and_b64 vcc, s[2:3], s[4:5]
	v_cmp_gt_i32_e64 s[4:5], s46, v20
	v_mov_b32_e32 v20, 0
	s_waitcnt vmcnt(2)
	v_cndmask_b32_e32 v5, 0, v9, vcc
	v_cndmask_b32_e32 v8, 0, v8, vcc
	;; [unrolled: 1-line block ×4, first 2 shown]
	v_cmp_gt_i32_e32 vcc, s53, v19
	s_and_b64 s[4:5], s[4:5], vcc
	v_mov_b32_e32 v18, 0
	v_mov_b32_e32 v19, 0
	s_waitcnt vmcnt(1)
	v_cndmask_b32_e64 v9, 0, v13, s[4:5]
	v_cndmask_b32_e64 v12, 0, v12, s[4:5]
	;; [unrolled: 1-line block ×4, first 2 shown]
	v_cmp_gt_i32_e64 s[4:5], s46, v73
	s_and_b64 s[4:5], s[4:5], vcc
	v_mov_b32_e32 v34, 0
	s_waitcnt vmcnt(0)
	v_cndmask_b32_e64 v13, 0, v17, s[4:5]
	v_cndmask_b32_e64 v16, 0, v16, s[4:5]
	v_cndmask_b32_e64 v15, 0, v15, s[4:5]
	v_cndmask_b32_e64 v14, 0, v14, s[4:5]
	ds_write2st64_b32 v68, v2, v3 offset1:2
	ds_write2st64_b32 v68, v4, v0 offset0:4 offset1:6
	ds_write2st64_b32 v68, v6, v7 offset0:8 offset1:10
	;; [unrolled: 1-line block ×7, first 2 shown]
	v_or_b32_e32 v0, 16, v21
	v_mul_lo_u32 v75, s52, v0
	s_waitcnt lgkmcnt(0)
	s_barrier
	ds_read_b128 v[0:3], v66
	ds_read_b128 v[4:7], v67 offset:16384
	ds_read_b128 v[76:79], v67 offset:16640
	;; [unrolled: 1-line block ×3, first 2 shown]
	v_mov_b32_e32 v14, 0
	v_mov_b32_e32 v15, 0
	;; [unrolled: 1-line block ×3, first 2 shown]
	s_waitcnt lgkmcnt(2)
	v_dot2c_f32_f16_e32 v62, v0, v4
	v_dot2c_f32_f16_e32 v63, v0, v5
	;; [unrolled: 1-line block ×16, first 2 shown]
	s_waitcnt lgkmcnt(1)
	v_dot2c_f32_f16_e32 v58, v0, v76
	v_dot2c_f32_f16_e32 v59, v0, v77
	;; [unrolled: 1-line block ×16, first 2 shown]
	v_mov_b32_e32 v2, 0
	v_mov_b32_e32 v3, 0
	;; [unrolled: 1-line block ×10, first 2 shown]
	s_waitcnt lgkmcnt(0)
	v_dot2c_f32_f16_e32 v2, v80, v4
	v_dot2c_f32_f16_e32 v3, v80, v5
	v_dot2c_f32_f16_e32 v0, v80, v6
	v_dot2c_f32_f16_e32 v1, v80, v7
	v_dot2c_f32_f16_e32 v14, v81, v4
	v_dot2c_f32_f16_e32 v15, v81, v5
	v_dot2c_f32_f16_e32 v10, v81, v6
	v_dot2c_f32_f16_e32 v11, v81, v7
	v_dot2c_f32_f16_e32 v20, v82, v4
	v_dot2c_f32_f16_e32 v21, v82, v5
	v_dot2c_f32_f16_e32 v18, v82, v6
	v_dot2c_f32_f16_e32 v19, v82, v7
	v_dot2c_f32_f16_e32 v34, v83, v4
	v_dot2c_f32_f16_e32 v35, v83, v5
	v_dot2c_f32_f16_e32 v30, v83, v6
	v_dot2c_f32_f16_e32 v31, v83, v7
	v_mov_b32_e32 v6, 0
	v_mov_b32_e32 v7, 0
	;; [unrolled: 1-line block ×15, first 2 shown]
	ds_read_b128 v[84:87], v66 offset:512
	ds_read_b128 v[88:91], v67 offset:16896
	v_dot2c_f32_f16_e32 v6, v80, v76
	v_dot2c_f32_f16_e32 v7, v80, v77
	;; [unrolled: 1-line block ×16, first 2 shown]
	ds_read_b128 v[76:79], v67 offset:17152
	ds_read_b128 v[80:83], v66 offset:768
	s_waitcnt lgkmcnt(2)
	v_dot2c_f32_f16_e32 v62, v84, v88
	v_dot2c_f32_f16_e32 v63, v84, v89
	;; [unrolled: 1-line block ×16, first 2 shown]
	s_waitcnt lgkmcnt(1)
	v_dot2c_f32_f16_e32 v58, v84, v76
	v_dot2c_f32_f16_e32 v59, v84, v77
	;; [unrolled: 1-line block ×16, first 2 shown]
	ds_read_b128 v[84:87], v66 offset:1024
	s_waitcnt lgkmcnt(1)
	v_dot2c_f32_f16_e32 v2, v80, v88
	v_dot2c_f32_f16_e32 v3, v80, v89
	;; [unrolled: 1-line block ×16, first 2 shown]
	ds_read_b128 v[88:91], v67 offset:17408
	v_dot2c_f32_f16_e32 v6, v80, v76
	v_dot2c_f32_f16_e32 v7, v80, v77
	;; [unrolled: 1-line block ×16, first 2 shown]
	ds_read_b128 v[76:79], v67 offset:17664
	ds_read_b128 v[80:83], v66 offset:1280
	s_waitcnt lgkmcnt(2)
	v_dot2c_f32_f16_e32 v62, v84, v88
	v_dot2c_f32_f16_e32 v63, v84, v89
	;; [unrolled: 1-line block ×16, first 2 shown]
	s_waitcnt lgkmcnt(1)
	v_dot2c_f32_f16_e32 v58, v84, v76
	v_dot2c_f32_f16_e32 v59, v84, v77
	v_dot2c_f32_f16_e32 v56, v84, v78
	v_dot2c_f32_f16_e32 v57, v84, v79
	v_dot2c_f32_f16_e32 v54, v85, v76
	v_dot2c_f32_f16_e32 v55, v85, v77
	v_dot2c_f32_f16_e32 v52, v85, v78
	v_dot2c_f32_f16_e32 v53, v85, v79
	v_dot2c_f32_f16_e32 v44, v86, v76
	v_dot2c_f32_f16_e32 v45, v86, v77
	v_dot2c_f32_f16_e32 v40, v86, v78
	v_dot2c_f32_f16_e32 v41, v86, v79
	v_dot2c_f32_f16_e32 v38, v87, v76
	v_dot2c_f32_f16_e32 v39, v87, v77
	v_dot2c_f32_f16_e32 v36, v87, v78
	v_dot2c_f32_f16_e32 v37, v87, v79
	ds_read_b128 v[84:87], v66 offset:1536
	s_waitcnt lgkmcnt(1)
	v_dot2c_f32_f16_e32 v2, v80, v88
	v_dot2c_f32_f16_e32 v3, v80, v89
	;; [unrolled: 1-line block ×16, first 2 shown]
	ds_read_b128 v[88:91], v67 offset:17920
	v_dot2c_f32_f16_e32 v6, v80, v76
	v_dot2c_f32_f16_e32 v7, v80, v77
	;; [unrolled: 1-line block ×16, first 2 shown]
	ds_read_b128 v[76:79], v67 offset:18176
	ds_read_b128 v[80:83], v66 offset:1792
	s_waitcnt lgkmcnt(2)
	v_dot2c_f32_f16_e32 v62, v84, v88
	v_dot2c_f32_f16_e32 v63, v84, v89
	;; [unrolled: 1-line block ×16, first 2 shown]
	s_waitcnt lgkmcnt(1)
	v_dot2c_f32_f16_e32 v58, v84, v76
	v_dot2c_f32_f16_e32 v59, v84, v77
	;; [unrolled: 1-line block ×16, first 2 shown]
	ds_read_b128 v[84:87], v66 offset:2048
	s_waitcnt lgkmcnt(1)
	v_dot2c_f32_f16_e32 v2, v80, v88
	v_dot2c_f32_f16_e32 v3, v80, v89
	;; [unrolled: 1-line block ×16, first 2 shown]
	ds_read_b128 v[88:91], v67 offset:18432
	v_dot2c_f32_f16_e32 v6, v80, v76
	v_dot2c_f32_f16_e32 v7, v80, v77
	v_dot2c_f32_f16_e32 v4, v80, v78
	v_dot2c_f32_f16_e32 v5, v80, v79
	v_dot2c_f32_f16_e32 v12, v81, v76
	v_dot2c_f32_f16_e32 v13, v81, v77
	v_dot2c_f32_f16_e32 v8, v81, v78
	v_dot2c_f32_f16_e32 v9, v81, v79
	v_dot2c_f32_f16_e32 v24, v82, v76
	v_dot2c_f32_f16_e32 v25, v82, v77
	v_dot2c_f32_f16_e32 v22, v82, v78
	v_dot2c_f32_f16_e32 v23, v82, v79
	v_dot2c_f32_f16_e32 v32, v83, v76
	v_dot2c_f32_f16_e32 v33, v83, v77
	v_dot2c_f32_f16_e32 v16, v83, v78
	v_dot2c_f32_f16_e32 v17, v83, v79
	ds_read_b128 v[76:79], v67 offset:18688
	ds_read_b128 v[80:83], v66 offset:2304
	s_waitcnt lgkmcnt(2)
	v_dot2c_f32_f16_e32 v62, v84, v88
	v_dot2c_f32_f16_e32 v63, v84, v89
	v_dot2c_f32_f16_e32 v60, v84, v90
	v_dot2c_f32_f16_e32 v61, v84, v91
	v_dot2c_f32_f16_e32 v50, v85, v88
	v_dot2c_f32_f16_e32 v51, v85, v89
	v_dot2c_f32_f16_e32 v48, v85, v90
	v_dot2c_f32_f16_e32 v49, v85, v91
	v_dot2c_f32_f16_e32 v46, v86, v88
	v_dot2c_f32_f16_e32 v47, v86, v89
	v_dot2c_f32_f16_e32 v42, v86, v90
	v_dot2c_f32_f16_e32 v43, v86, v91
	v_dot2c_f32_f16_e32 v28, v87, v88
	v_dot2c_f32_f16_e32 v29, v87, v89
	v_dot2c_f32_f16_e32 v26, v87, v90
	v_dot2c_f32_f16_e32 v27, v87, v91
	s_waitcnt lgkmcnt(1)
	v_dot2c_f32_f16_e32 v58, v84, v76
	v_dot2c_f32_f16_e32 v59, v84, v77
	;; [unrolled: 1-line block ×16, first 2 shown]
	ds_read_b128 v[84:87], v66 offset:2560
	s_waitcnt lgkmcnt(1)
	v_dot2c_f32_f16_e32 v2, v80, v88
	v_dot2c_f32_f16_e32 v3, v80, v89
	;; [unrolled: 1-line block ×16, first 2 shown]
	ds_read_b128 v[88:91], v67 offset:18944
	v_dot2c_f32_f16_e32 v6, v80, v76
	v_dot2c_f32_f16_e32 v7, v80, v77
	;; [unrolled: 1-line block ×16, first 2 shown]
	ds_read_b128 v[76:79], v67 offset:19200
	ds_read_b128 v[80:83], v66 offset:2816
	s_waitcnt lgkmcnt(2)
	v_dot2c_f32_f16_e32 v62, v84, v88
	v_dot2c_f32_f16_e32 v63, v84, v89
	;; [unrolled: 1-line block ×16, first 2 shown]
	s_waitcnt lgkmcnt(1)
	v_dot2c_f32_f16_e32 v58, v84, v76
	v_dot2c_f32_f16_e32 v59, v84, v77
	;; [unrolled: 1-line block ×16, first 2 shown]
	ds_read_b128 v[84:87], v66 offset:3072
	s_waitcnt lgkmcnt(1)
	v_dot2c_f32_f16_e32 v2, v80, v88
	v_dot2c_f32_f16_e32 v3, v80, v89
	;; [unrolled: 1-line block ×16, first 2 shown]
	ds_read_b128 v[88:91], v67 offset:19456
	v_dot2c_f32_f16_e32 v6, v80, v76
	v_dot2c_f32_f16_e32 v7, v80, v77
	;; [unrolled: 1-line block ×16, first 2 shown]
	ds_read_b128 v[76:79], v67 offset:19712
	ds_read_b128 v[80:83], v66 offset:3328
	s_waitcnt lgkmcnt(2)
	v_dot2c_f32_f16_e32 v62, v84, v88
	v_dot2c_f32_f16_e32 v63, v84, v89
	;; [unrolled: 1-line block ×16, first 2 shown]
	s_waitcnt lgkmcnt(1)
	v_dot2c_f32_f16_e32 v58, v84, v76
	v_dot2c_f32_f16_e32 v59, v84, v77
	;; [unrolled: 1-line block ×16, first 2 shown]
	ds_read_b128 v[84:87], v66 offset:3584
	s_waitcnt lgkmcnt(1)
	v_dot2c_f32_f16_e32 v2, v80, v88
	v_dot2c_f32_f16_e32 v3, v80, v89
	;; [unrolled: 1-line block ×16, first 2 shown]
	ds_read_b128 v[88:91], v67 offset:19968
	v_dot2c_f32_f16_e32 v6, v80, v76
	v_dot2c_f32_f16_e32 v7, v80, v77
	;; [unrolled: 1-line block ×16, first 2 shown]
	ds_read_b128 v[76:79], v67 offset:20224
	ds_read_b128 v[80:83], v66 offset:3840
	s_waitcnt lgkmcnt(2)
	v_dot2c_f32_f16_e32 v62, v84, v88
	v_dot2c_f32_f16_e32 v63, v84, v89
	;; [unrolled: 1-line block ×16, first 2 shown]
	s_waitcnt lgkmcnt(1)
	v_dot2c_f32_f16_e32 v58, v84, v76
	v_dot2c_f32_f16_e32 v59, v84, v77
	;; [unrolled: 1-line block ×16, first 2 shown]
	ds_read_b128 v[84:87], v66 offset:4096
	s_waitcnt lgkmcnt(1)
	v_dot2c_f32_f16_e32 v2, v80, v88
	v_dot2c_f32_f16_e32 v3, v80, v89
	;; [unrolled: 1-line block ×16, first 2 shown]
	ds_read_b128 v[88:91], v67 offset:20480
	v_dot2c_f32_f16_e32 v6, v80, v76
	v_dot2c_f32_f16_e32 v7, v80, v77
	;; [unrolled: 1-line block ×16, first 2 shown]
	ds_read_b128 v[76:79], v67 offset:20736
	ds_read_b128 v[80:83], v66 offset:4352
	s_waitcnt lgkmcnt(2)
	v_dot2c_f32_f16_e32 v62, v84, v88
	v_dot2c_f32_f16_e32 v63, v84, v89
	;; [unrolled: 1-line block ×16, first 2 shown]
	s_waitcnt lgkmcnt(1)
	v_dot2c_f32_f16_e32 v58, v84, v76
	v_dot2c_f32_f16_e32 v59, v84, v77
	;; [unrolled: 1-line block ×16, first 2 shown]
	ds_read_b128 v[84:87], v66 offset:4608
	s_waitcnt lgkmcnt(1)
	v_dot2c_f32_f16_e32 v2, v80, v88
	v_dot2c_f32_f16_e32 v3, v80, v89
	;; [unrolled: 1-line block ×16, first 2 shown]
	ds_read_b128 v[88:91], v67 offset:20992
	v_dot2c_f32_f16_e32 v6, v80, v76
	v_dot2c_f32_f16_e32 v7, v80, v77
	;; [unrolled: 1-line block ×16, first 2 shown]
	ds_read_b128 v[76:79], v67 offset:21248
	ds_read_b128 v[80:83], v66 offset:4864
	s_waitcnt lgkmcnt(2)
	v_dot2c_f32_f16_e32 v62, v84, v88
	v_dot2c_f32_f16_e32 v63, v84, v89
	v_dot2c_f32_f16_e32 v60, v84, v90
	v_dot2c_f32_f16_e32 v61, v84, v91
	v_dot2c_f32_f16_e32 v50, v85, v88
	v_dot2c_f32_f16_e32 v51, v85, v89
	v_dot2c_f32_f16_e32 v48, v85, v90
	v_dot2c_f32_f16_e32 v49, v85, v91
	v_dot2c_f32_f16_e32 v46, v86, v88
	v_dot2c_f32_f16_e32 v47, v86, v89
	v_dot2c_f32_f16_e32 v42, v86, v90
	v_dot2c_f32_f16_e32 v43, v86, v91
	v_dot2c_f32_f16_e32 v28, v87, v88
	v_dot2c_f32_f16_e32 v29, v87, v89
	v_dot2c_f32_f16_e32 v26, v87, v90
	v_dot2c_f32_f16_e32 v27, v87, v91
	s_waitcnt lgkmcnt(1)
	v_dot2c_f32_f16_e32 v58, v84, v76
	v_dot2c_f32_f16_e32 v59, v84, v77
	;; [unrolled: 1-line block ×16, first 2 shown]
	ds_read_b128 v[84:87], v66 offset:5120
	s_waitcnt lgkmcnt(1)
	v_dot2c_f32_f16_e32 v2, v80, v88
	v_dot2c_f32_f16_e32 v3, v80, v89
	;; [unrolled: 1-line block ×16, first 2 shown]
	ds_read_b128 v[88:91], v67 offset:21504
	v_dot2c_f32_f16_e32 v6, v80, v76
	v_dot2c_f32_f16_e32 v7, v80, v77
	;; [unrolled: 1-line block ×16, first 2 shown]
	ds_read_b128 v[76:79], v67 offset:21760
	ds_read_b128 v[80:83], v66 offset:5376
	s_waitcnt lgkmcnt(2)
	v_dot2c_f32_f16_e32 v62, v84, v88
	v_dot2c_f32_f16_e32 v63, v84, v89
	;; [unrolled: 1-line block ×16, first 2 shown]
	s_waitcnt lgkmcnt(1)
	v_dot2c_f32_f16_e32 v58, v84, v76
	v_dot2c_f32_f16_e32 v59, v84, v77
	;; [unrolled: 1-line block ×16, first 2 shown]
	ds_read_b128 v[84:87], v66 offset:5632
	s_waitcnt lgkmcnt(1)
	v_dot2c_f32_f16_e32 v2, v80, v88
	v_dot2c_f32_f16_e32 v3, v80, v89
	;; [unrolled: 1-line block ×16, first 2 shown]
	ds_read_b128 v[88:91], v67 offset:22016
	v_dot2c_f32_f16_e32 v6, v80, v76
	v_dot2c_f32_f16_e32 v7, v80, v77
	;; [unrolled: 1-line block ×16, first 2 shown]
	ds_read_b128 v[76:79], v67 offset:22272
	ds_read_b128 v[80:83], v66 offset:5888
	s_waitcnt lgkmcnt(2)
	v_dot2c_f32_f16_e32 v62, v84, v88
	v_dot2c_f32_f16_e32 v63, v84, v89
	v_dot2c_f32_f16_e32 v60, v84, v90
	v_dot2c_f32_f16_e32 v61, v84, v91
	v_dot2c_f32_f16_e32 v50, v85, v88
	v_dot2c_f32_f16_e32 v51, v85, v89
	v_dot2c_f32_f16_e32 v48, v85, v90
	v_dot2c_f32_f16_e32 v49, v85, v91
	v_dot2c_f32_f16_e32 v46, v86, v88
	v_dot2c_f32_f16_e32 v47, v86, v89
	v_dot2c_f32_f16_e32 v42, v86, v90
	v_dot2c_f32_f16_e32 v43, v86, v91
	v_dot2c_f32_f16_e32 v28, v87, v88
	v_dot2c_f32_f16_e32 v29, v87, v89
	v_dot2c_f32_f16_e32 v26, v87, v90
	v_dot2c_f32_f16_e32 v27, v87, v91
	s_waitcnt lgkmcnt(1)
	v_dot2c_f32_f16_e32 v58, v84, v76
	v_dot2c_f32_f16_e32 v59, v84, v77
	;; [unrolled: 1-line block ×16, first 2 shown]
	ds_read_b128 v[84:87], v66 offset:6144
	s_waitcnt lgkmcnt(1)
	v_dot2c_f32_f16_e32 v2, v80, v88
	v_dot2c_f32_f16_e32 v3, v80, v89
	;; [unrolled: 1-line block ×16, first 2 shown]
	ds_read_b128 v[88:91], v67 offset:22528
	v_dot2c_f32_f16_e32 v6, v80, v76
	v_dot2c_f32_f16_e32 v7, v80, v77
	;; [unrolled: 1-line block ×16, first 2 shown]
	ds_read_b128 v[76:79], v67 offset:22784
	ds_read_b128 v[80:83], v66 offset:6400
	s_waitcnt lgkmcnt(2)
	v_dot2c_f32_f16_e32 v62, v84, v88
	v_dot2c_f32_f16_e32 v63, v84, v89
	;; [unrolled: 1-line block ×16, first 2 shown]
	s_waitcnt lgkmcnt(1)
	v_dot2c_f32_f16_e32 v58, v84, v76
	v_dot2c_f32_f16_e32 v59, v84, v77
	;; [unrolled: 1-line block ×16, first 2 shown]
	ds_read_b128 v[84:87], v66 offset:6656
	s_waitcnt lgkmcnt(1)
	v_dot2c_f32_f16_e32 v2, v80, v88
	v_dot2c_f32_f16_e32 v3, v80, v89
	;; [unrolled: 1-line block ×16, first 2 shown]
	ds_read_b128 v[88:91], v67 offset:23040
	v_dot2c_f32_f16_e32 v6, v80, v76
	v_dot2c_f32_f16_e32 v7, v80, v77
	;; [unrolled: 1-line block ×16, first 2 shown]
	ds_read_b128 v[76:79], v67 offset:23296
	ds_read_b128 v[80:83], v66 offset:6912
	s_waitcnt lgkmcnt(2)
	v_dot2c_f32_f16_e32 v62, v84, v88
	v_dot2c_f32_f16_e32 v63, v84, v89
	;; [unrolled: 1-line block ×16, first 2 shown]
	s_waitcnt lgkmcnt(1)
	v_dot2c_f32_f16_e32 v58, v84, v76
	v_dot2c_f32_f16_e32 v59, v84, v77
	;; [unrolled: 1-line block ×16, first 2 shown]
	ds_read_b128 v[84:87], v66 offset:7168
	s_waitcnt lgkmcnt(1)
	v_dot2c_f32_f16_e32 v2, v80, v88
	v_dot2c_f32_f16_e32 v3, v80, v89
	;; [unrolled: 1-line block ×16, first 2 shown]
	ds_read_b128 v[88:91], v67 offset:23552
	v_dot2c_f32_f16_e32 v6, v80, v76
	v_dot2c_f32_f16_e32 v7, v80, v77
	v_dot2c_f32_f16_e32 v4, v80, v78
	v_dot2c_f32_f16_e32 v5, v80, v79
	v_dot2c_f32_f16_e32 v12, v81, v76
	v_dot2c_f32_f16_e32 v13, v81, v77
	v_dot2c_f32_f16_e32 v8, v81, v78
	v_dot2c_f32_f16_e32 v9, v81, v79
	v_dot2c_f32_f16_e32 v24, v82, v76
	v_dot2c_f32_f16_e32 v25, v82, v77
	v_dot2c_f32_f16_e32 v22, v82, v78
	v_dot2c_f32_f16_e32 v23, v82, v79
	v_dot2c_f32_f16_e32 v32, v83, v76
	v_dot2c_f32_f16_e32 v33, v83, v77
	v_dot2c_f32_f16_e32 v16, v83, v78
	v_dot2c_f32_f16_e32 v17, v83, v79
	ds_read_b128 v[76:79], v67 offset:23808
	ds_read_b128 v[80:83], v66 offset:7424
	s_waitcnt lgkmcnt(2)
	v_dot2c_f32_f16_e32 v62, v84, v88
	v_dot2c_f32_f16_e32 v63, v84, v89
	;; [unrolled: 1-line block ×16, first 2 shown]
	s_waitcnt lgkmcnt(1)
	v_dot2c_f32_f16_e32 v58, v84, v76
	v_dot2c_f32_f16_e32 v59, v84, v77
	;; [unrolled: 1-line block ×16, first 2 shown]
	ds_read_b128 v[84:87], v66 offset:7680
	s_waitcnt lgkmcnt(1)
	v_dot2c_f32_f16_e32 v2, v80, v88
	v_dot2c_f32_f16_e32 v3, v80, v89
	;; [unrolled: 1-line block ×16, first 2 shown]
	ds_read_b128 v[88:91], v67 offset:24064
	v_dot2c_f32_f16_e32 v6, v80, v76
	v_dot2c_f32_f16_e32 v7, v80, v77
	;; [unrolled: 1-line block ×16, first 2 shown]
	ds_read_b128 v[76:79], v67 offset:24320
	ds_read_b128 v[80:83], v66 offset:7936
	s_waitcnt lgkmcnt(2)
	v_dot2c_f32_f16_e32 v62, v84, v88
	v_dot2c_f32_f16_e32 v63, v84, v89
	;; [unrolled: 1-line block ×4, first 2 shown]
	s_waitcnt lgkmcnt(1)
	v_dot2c_f32_f16_e32 v58, v84, v76
	v_dot2c_f32_f16_e32 v59, v84, v77
	v_dot2c_f32_f16_e32 v56, v84, v78
	v_dot2c_f32_f16_e32 v57, v84, v79
	v_mul_hi_u32 v84, v75, s50
	v_add_u32_e32 v84, v75, v84
	v_dot2c_f32_f16_e32 v50, v85, v88
	v_dot2c_f32_f16_e32 v51, v85, v89
	;; [unrolled: 1-line block ×8, first 2 shown]
	v_lshrrev_b32_e32 v85, s49, v84
	v_mul_lo_u32 v84, v85, s48
	v_sub_u32_e32 v84, v75, v84
	v_sub_u32_e32 v70, v85, v70
	;; [unrolled: 1-line block ×3, first 2 shown]
	v_mul_lo_u32 v70, v70, s44
	v_add_u32_e32 v74, v74, v70
	v_mul_lo_u32 v70, v70, s9
	v_mul_lo_u32 v71, v71, s10
	v_add_u32_e32 v96, s8, v75
	v_add3_u32 v72, v71, v70, v72
	v_mul_hi_u32 v70, v96, s50
	v_add_u32_e32 v70, v96, v70
	v_dot2c_f32_f16_e32 v28, v87, v88
	v_dot2c_f32_f16_e32 v29, v87, v89
	;; [unrolled: 1-line block ×8, first 2 shown]
	v_lshrrev_b32_e32 v87, s49, v70
	v_dot2c_f32_f16_e32 v46, v86, v88
	v_dot2c_f32_f16_e32 v47, v86, v89
	;; [unrolled: 1-line block ×8, first 2 shown]
	v_lshlrev_b32_e32 v86, 1, v72
	v_mad_u64_u32 v[70:71], s[4:5], v87, s48, v[84:85]
	v_sub_u32_e32 v71, v96, v70
	v_sub_u32_e32 v70, v87, v85
	buffer_load_dwordx4 v[84:87], v86, s[36:39], 0 offen
	v_mul_lo_u32 v97, v70, s44
	v_mul_lo_u32 v70, v97, s9
	v_mad_u64_u32 v[70:71], s[4:5], v71, s10, v[70:71]
	v_cmp_gt_i32_e64 s[4:5], s22, v75
	v_cmp_gt_i32_e64 s[8:9], s12, v74
	v_add_lshl_u32 v70, v70, v72, 1
	v_cmp_le_i32_e64 s[6:7], s47, v74
	s_and_b64 s[4:5], s[8:9], s[4:5]
	s_mul_i32 s51, s51, 12
	s_and_b64 s[4:5], s[4:5], s[6:7]
	buffer_load_dwordx4 v[92:95], v70, s[36:39], 0 offen
	v_add_u32_e32 v70, v74, v97
	v_add_u32_e32 v69, s51, v69
	s_and_b64 s[4:5], s[2:3], s[4:5]
	v_cmp_le_i32_e64 s[6:7], s47, v70
	v_cmp_gt_i32_e64 s[8:9], s12, v70
	v_lshlrev_b32_e32 v70, 1, v69
	v_add_lshl_u32 v69, v69, s19, 1
	s_waitcnt lgkmcnt(0)
	v_dot2c_f32_f16_e32 v2, v80, v88
	v_dot2c_f32_f16_e32 v14, v81, v88
	v_dot2c_f32_f16_e32 v20, v82, v88
	v_dot2c_f32_f16_e32 v34, v83, v88
	v_add_u32_e32 v88, s51, v73
	v_dot2c_f32_f16_e32 v3, v80, v89
	v_dot2c_f32_f16_e32 v0, v80, v90
	;; [unrolled: 1-line block ×28, first 2 shown]
	v_or_b32_e32 v91, s17, v65
	v_add_u32_e32 v90, s18, v64
	v_mul_lo_u32 v64, v91, s34
	s_and_b32 s21, s21, 0xffff
	s_mov_b32 s23, s39
	s_lshl_b32 s14, s35, 6
	s_and_b32 s17, s15, 0xffff
	s_waitcnt vmcnt(1)
	v_cndmask_b32_e64 v75, 0, v87, s[4:5]
	v_cndmask_b32_e64 v98, 0, v86, s[4:5]
	;; [unrolled: 1-line block ×4, first 2 shown]
	buffer_load_dwordx4 v[84:87], v70, s[40:43], 0 offen
	v_cmp_gt_i32_e64 s[4:5], s22, v96
	buffer_load_dwordx4 v[70:73], v69, s[40:43], 0 offen
	s_and_b64 s[4:5], s[8:9], s[4:5]
	s_and_b64 s[4:5], s[4:5], s[6:7]
	;; [unrolled: 1-line block ×3, first 2 shown]
	ds_write2st64_b32 v68, v100, v99 offset0:32 offset1:34
	s_lshl_b32 s22, s11, 1
	s_waitcnt vmcnt(2)
	v_cndmask_b32_e64 v74, 0, v95, s[2:3]
	v_cndmask_b32_e64 v94, 0, v94, s[2:3]
	;; [unrolled: 1-line block ×4, first 2 shown]
	v_cmp_gt_i32_e64 s[2:3], s46, v88
	s_and_b64 s[2:3], s[2:3], vcc
	v_or_b32_e32 v95, 3, v91
	s_waitcnt vmcnt(1)
	v_cndmask_b32_e64 v69, 0, v87, s[2:3]
	v_add_u32_e32 v87, s19, v88
	v_cndmask_b32_e64 v86, 0, v86, s[2:3]
	v_cndmask_b32_e64 v85, 0, v85, s[2:3]
	v_cndmask_b32_e64 v84, 0, v84, s[2:3]
	v_cmp_gt_i32_e64 s[2:3], s46, v87
	s_and_b64 vcc, s[2:3], vcc
	s_waitcnt vmcnt(0)
	v_cndmask_b32_e32 v73, 0, v73, vcc
	v_cndmask_b32_e32 v72, 0, v72, vcc
	;; [unrolled: 1-line block ×4, first 2 shown]
	ds_write2st64_b32 v68, v98, v75 offset0:36 offset1:38
	ds_write2st64_b32 v68, v92, v93 offset0:40 offset1:42
	ds_write2st64_b32 v68, v94, v74 offset0:44 offset1:46
	ds_write2st64_b32 v68, v84, v85 offset0:96 offset1:98
	ds_write2st64_b32 v68, v86, v69 offset0:100 offset1:102
	ds_write2st64_b32 v68, v70, v71 offset0:104 offset1:106
	ds_write2st64_b32 v68, v72, v73 offset0:108 offset1:110
	s_waitcnt lgkmcnt(0)
	s_barrier
	ds_read_b128 v[68:71], v66 offset:8192
	ds_read_b128 v[72:75], v67 offset:24576
	;; [unrolled: 1-line block ×4, first 2 shown]
	v_mad_u64_u32 v[64:65], s[2:3], v90, s35, v[64:65]
	v_lshlrev_b32_e32 v65, 1, v64
	s_waitcnt lgkmcnt(2)
	v_dot2c_f32_f16_e32 v62, v68, v72
	v_dot2c_f32_f16_e32 v63, v68, v73
	;; [unrolled: 1-line block ×16, first 2 shown]
	s_waitcnt lgkmcnt(1)
	v_dot2c_f32_f16_e32 v58, v68, v76
	v_dot2c_f32_f16_e32 v59, v68, v77
	;; [unrolled: 1-line block ×16, first 2 shown]
	ds_read_b128 v[68:71], v66 offset:8704
	s_waitcnt lgkmcnt(1)
	v_dot2c_f32_f16_e32 v2, v80, v72
	v_dot2c_f32_f16_e32 v3, v80, v73
	;; [unrolled: 1-line block ×16, first 2 shown]
	ds_read_b128 v[72:75], v67 offset:25088
	v_dot2c_f32_f16_e32 v6, v80, v76
	v_dot2c_f32_f16_e32 v7, v80, v77
	;; [unrolled: 1-line block ×16, first 2 shown]
	ds_read_b128 v[76:79], v67 offset:25344
	ds_read_b128 v[80:83], v66 offset:8960
	s_waitcnt lgkmcnt(2)
	v_dot2c_f32_f16_e32 v62, v68, v72
	v_dot2c_f32_f16_e32 v63, v68, v73
	;; [unrolled: 1-line block ×16, first 2 shown]
	s_waitcnt lgkmcnt(1)
	v_dot2c_f32_f16_e32 v58, v68, v76
	v_dot2c_f32_f16_e32 v59, v68, v77
	;; [unrolled: 1-line block ×16, first 2 shown]
	ds_read_b128 v[68:71], v66 offset:9216
	s_waitcnt lgkmcnt(1)
	v_dot2c_f32_f16_e32 v2, v80, v72
	v_dot2c_f32_f16_e32 v3, v80, v73
	v_dot2c_f32_f16_e32 v0, v80, v74
	v_dot2c_f32_f16_e32 v1, v80, v75
	v_dot2c_f32_f16_e32 v14, v81, v72
	v_dot2c_f32_f16_e32 v15, v81, v73
	v_dot2c_f32_f16_e32 v10, v81, v74
	v_dot2c_f32_f16_e32 v11, v81, v75
	v_dot2c_f32_f16_e32 v20, v82, v72
	v_dot2c_f32_f16_e32 v21, v82, v73
	v_dot2c_f32_f16_e32 v18, v82, v74
	v_dot2c_f32_f16_e32 v19, v82, v75
	v_dot2c_f32_f16_e32 v34, v83, v72
	v_dot2c_f32_f16_e32 v35, v83, v73
	v_dot2c_f32_f16_e32 v30, v83, v74
	v_dot2c_f32_f16_e32 v31, v83, v75
	ds_read_b128 v[72:75], v67 offset:25600
	v_dot2c_f32_f16_e32 v6, v80, v76
	v_dot2c_f32_f16_e32 v7, v80, v77
	;; [unrolled: 1-line block ×16, first 2 shown]
	ds_read_b128 v[76:79], v67 offset:25856
	ds_read_b128 v[80:83], v66 offset:9472
	s_waitcnt lgkmcnt(2)
	v_dot2c_f32_f16_e32 v62, v68, v72
	v_dot2c_f32_f16_e32 v63, v68, v73
	;; [unrolled: 1-line block ×16, first 2 shown]
	s_waitcnt lgkmcnt(1)
	v_dot2c_f32_f16_e32 v58, v68, v76
	v_dot2c_f32_f16_e32 v59, v68, v77
	;; [unrolled: 1-line block ×16, first 2 shown]
	ds_read_b128 v[68:71], v66 offset:9728
	s_waitcnt lgkmcnt(1)
	v_dot2c_f32_f16_e32 v2, v80, v72
	v_dot2c_f32_f16_e32 v3, v80, v73
	;; [unrolled: 1-line block ×16, first 2 shown]
	ds_read_b128 v[72:75], v67 offset:26112
	v_dot2c_f32_f16_e32 v6, v80, v76
	v_dot2c_f32_f16_e32 v7, v80, v77
	;; [unrolled: 1-line block ×16, first 2 shown]
	ds_read_b128 v[76:79], v67 offset:26368
	ds_read_b128 v[80:83], v66 offset:9984
	s_waitcnt lgkmcnt(2)
	v_dot2c_f32_f16_e32 v62, v68, v72
	v_dot2c_f32_f16_e32 v63, v68, v73
	;; [unrolled: 1-line block ×16, first 2 shown]
	s_waitcnt lgkmcnt(1)
	v_dot2c_f32_f16_e32 v58, v68, v76
	v_dot2c_f32_f16_e32 v59, v68, v77
	;; [unrolled: 1-line block ×16, first 2 shown]
	ds_read_b128 v[68:71], v66 offset:10240
	s_waitcnt lgkmcnt(1)
	v_dot2c_f32_f16_e32 v2, v80, v72
	v_dot2c_f32_f16_e32 v3, v80, v73
	;; [unrolled: 1-line block ×16, first 2 shown]
	ds_read_b128 v[72:75], v67 offset:26624
	v_dot2c_f32_f16_e32 v6, v80, v76
	v_dot2c_f32_f16_e32 v7, v80, v77
	;; [unrolled: 1-line block ×16, first 2 shown]
	ds_read_b128 v[76:79], v67 offset:26880
	ds_read_b128 v[80:83], v66 offset:10496
	s_waitcnt lgkmcnt(2)
	v_dot2c_f32_f16_e32 v62, v68, v72
	v_dot2c_f32_f16_e32 v63, v68, v73
	;; [unrolled: 1-line block ×16, first 2 shown]
	s_waitcnt lgkmcnt(1)
	v_dot2c_f32_f16_e32 v58, v68, v76
	v_dot2c_f32_f16_e32 v59, v68, v77
	;; [unrolled: 1-line block ×16, first 2 shown]
	ds_read_b128 v[68:71], v66 offset:10752
	s_waitcnt lgkmcnt(1)
	v_dot2c_f32_f16_e32 v2, v80, v72
	v_dot2c_f32_f16_e32 v3, v80, v73
	;; [unrolled: 1-line block ×16, first 2 shown]
	ds_read_b128 v[72:75], v67 offset:27136
	v_dot2c_f32_f16_e32 v6, v80, v76
	v_dot2c_f32_f16_e32 v7, v80, v77
	;; [unrolled: 1-line block ×16, first 2 shown]
	ds_read_b128 v[76:79], v67 offset:27392
	ds_read_b128 v[80:83], v66 offset:11008
	s_waitcnt lgkmcnt(2)
	v_dot2c_f32_f16_e32 v62, v68, v72
	v_dot2c_f32_f16_e32 v63, v68, v73
	v_dot2c_f32_f16_e32 v60, v68, v74
	v_dot2c_f32_f16_e32 v61, v68, v75
	v_dot2c_f32_f16_e32 v50, v69, v72
	v_dot2c_f32_f16_e32 v51, v69, v73
	v_dot2c_f32_f16_e32 v48, v69, v74
	v_dot2c_f32_f16_e32 v49, v69, v75
	v_dot2c_f32_f16_e32 v46, v70, v72
	v_dot2c_f32_f16_e32 v47, v70, v73
	v_dot2c_f32_f16_e32 v42, v70, v74
	v_dot2c_f32_f16_e32 v43, v70, v75
	v_dot2c_f32_f16_e32 v28, v71, v72
	v_dot2c_f32_f16_e32 v29, v71, v73
	v_dot2c_f32_f16_e32 v26, v71, v74
	v_dot2c_f32_f16_e32 v27, v71, v75
	s_waitcnt lgkmcnt(1)
	v_dot2c_f32_f16_e32 v58, v68, v76
	v_dot2c_f32_f16_e32 v59, v68, v77
	;; [unrolled: 1-line block ×16, first 2 shown]
	ds_read_b128 v[68:71], v66 offset:11264
	s_waitcnt lgkmcnt(1)
	v_dot2c_f32_f16_e32 v2, v80, v72
	v_dot2c_f32_f16_e32 v3, v80, v73
	;; [unrolled: 1-line block ×16, first 2 shown]
	ds_read_b128 v[72:75], v67 offset:27648
	v_dot2c_f32_f16_e32 v6, v80, v76
	v_dot2c_f32_f16_e32 v7, v80, v77
	;; [unrolled: 1-line block ×16, first 2 shown]
	ds_read_b128 v[76:79], v67 offset:27904
	ds_read_b128 v[80:83], v66 offset:11520
	s_waitcnt lgkmcnt(2)
	v_dot2c_f32_f16_e32 v62, v68, v72
	v_dot2c_f32_f16_e32 v63, v68, v73
	;; [unrolled: 1-line block ×16, first 2 shown]
	s_waitcnt lgkmcnt(1)
	v_dot2c_f32_f16_e32 v58, v68, v76
	v_dot2c_f32_f16_e32 v59, v68, v77
	;; [unrolled: 1-line block ×16, first 2 shown]
	ds_read_b128 v[68:71], v66 offset:11776
	s_waitcnt lgkmcnt(1)
	v_dot2c_f32_f16_e32 v2, v80, v72
	v_dot2c_f32_f16_e32 v3, v80, v73
	;; [unrolled: 1-line block ×16, first 2 shown]
	ds_read_b128 v[72:75], v67 offset:28160
	v_dot2c_f32_f16_e32 v6, v80, v76
	v_dot2c_f32_f16_e32 v7, v80, v77
	;; [unrolled: 1-line block ×16, first 2 shown]
	ds_read_b128 v[76:79], v67 offset:28416
	ds_read_b128 v[80:83], v66 offset:12032
	s_waitcnt lgkmcnt(2)
	v_dot2c_f32_f16_e32 v62, v68, v72
	v_dot2c_f32_f16_e32 v63, v68, v73
	;; [unrolled: 1-line block ×16, first 2 shown]
	s_waitcnt lgkmcnt(1)
	v_dot2c_f32_f16_e32 v58, v68, v76
	v_dot2c_f32_f16_e32 v59, v68, v77
	;; [unrolled: 1-line block ×16, first 2 shown]
	ds_read_b128 v[68:71], v66 offset:12288
	s_waitcnt lgkmcnt(1)
	v_dot2c_f32_f16_e32 v2, v80, v72
	v_dot2c_f32_f16_e32 v3, v80, v73
	;; [unrolled: 1-line block ×16, first 2 shown]
	ds_read_b128 v[72:75], v67 offset:28672
	v_dot2c_f32_f16_e32 v6, v80, v76
	v_dot2c_f32_f16_e32 v7, v80, v77
	;; [unrolled: 1-line block ×16, first 2 shown]
	ds_read_b128 v[76:79], v67 offset:28928
	ds_read_b128 v[80:83], v66 offset:12544
	s_waitcnt lgkmcnt(2)
	v_dot2c_f32_f16_e32 v62, v68, v72
	v_dot2c_f32_f16_e32 v63, v68, v73
	;; [unrolled: 1-line block ×16, first 2 shown]
	s_waitcnt lgkmcnt(1)
	v_dot2c_f32_f16_e32 v58, v68, v76
	v_dot2c_f32_f16_e32 v59, v68, v77
	;; [unrolled: 1-line block ×16, first 2 shown]
	ds_read_b128 v[68:71], v66 offset:12800
	s_waitcnt lgkmcnt(1)
	v_dot2c_f32_f16_e32 v2, v80, v72
	v_dot2c_f32_f16_e32 v3, v80, v73
	;; [unrolled: 1-line block ×16, first 2 shown]
	ds_read_b128 v[72:75], v67 offset:29184
	v_dot2c_f32_f16_e32 v6, v80, v76
	v_dot2c_f32_f16_e32 v7, v80, v77
	;; [unrolled: 1-line block ×16, first 2 shown]
	ds_read_b128 v[76:79], v67 offset:29440
	ds_read_b128 v[80:83], v66 offset:13056
	s_waitcnt lgkmcnt(2)
	v_dot2c_f32_f16_e32 v62, v68, v72
	v_dot2c_f32_f16_e32 v63, v68, v73
	;; [unrolled: 1-line block ×16, first 2 shown]
	s_waitcnt lgkmcnt(1)
	v_dot2c_f32_f16_e32 v58, v68, v76
	v_dot2c_f32_f16_e32 v59, v68, v77
	;; [unrolled: 1-line block ×16, first 2 shown]
	ds_read_b128 v[68:71], v66 offset:13312
	s_waitcnt lgkmcnt(1)
	v_dot2c_f32_f16_e32 v2, v80, v72
	v_dot2c_f32_f16_e32 v3, v80, v73
	;; [unrolled: 1-line block ×16, first 2 shown]
	ds_read_b128 v[72:75], v67 offset:29696
	v_dot2c_f32_f16_e32 v6, v80, v76
	v_dot2c_f32_f16_e32 v7, v80, v77
	;; [unrolled: 1-line block ×16, first 2 shown]
	ds_read_b128 v[76:79], v67 offset:29952
	ds_read_b128 v[80:83], v66 offset:13568
	s_waitcnt lgkmcnt(2)
	v_dot2c_f32_f16_e32 v62, v68, v72
	v_dot2c_f32_f16_e32 v63, v68, v73
	;; [unrolled: 1-line block ×16, first 2 shown]
	s_waitcnt lgkmcnt(1)
	v_dot2c_f32_f16_e32 v58, v68, v76
	v_dot2c_f32_f16_e32 v59, v68, v77
	;; [unrolled: 1-line block ×16, first 2 shown]
	ds_read_b128 v[68:71], v66 offset:13824
	s_waitcnt lgkmcnt(1)
	v_dot2c_f32_f16_e32 v2, v80, v72
	v_dot2c_f32_f16_e32 v3, v80, v73
	;; [unrolled: 1-line block ×16, first 2 shown]
	ds_read_b128 v[72:75], v67 offset:30208
	v_dot2c_f32_f16_e32 v6, v80, v76
	v_dot2c_f32_f16_e32 v7, v80, v77
	;; [unrolled: 1-line block ×16, first 2 shown]
	ds_read_b128 v[76:79], v67 offset:30464
	ds_read_b128 v[80:83], v66 offset:14080
	s_waitcnt lgkmcnt(2)
	v_dot2c_f32_f16_e32 v62, v68, v72
	v_dot2c_f32_f16_e32 v63, v68, v73
	;; [unrolled: 1-line block ×16, first 2 shown]
	s_waitcnt lgkmcnt(1)
	v_dot2c_f32_f16_e32 v58, v68, v76
	v_dot2c_f32_f16_e32 v59, v68, v77
	;; [unrolled: 1-line block ×16, first 2 shown]
	ds_read_b128 v[68:71], v66 offset:14336
	s_waitcnt lgkmcnt(1)
	v_dot2c_f32_f16_e32 v2, v80, v72
	v_dot2c_f32_f16_e32 v3, v80, v73
	v_dot2c_f32_f16_e32 v0, v80, v74
	v_dot2c_f32_f16_e32 v1, v80, v75
	v_dot2c_f32_f16_e32 v14, v81, v72
	v_dot2c_f32_f16_e32 v15, v81, v73
	v_dot2c_f32_f16_e32 v10, v81, v74
	v_dot2c_f32_f16_e32 v11, v81, v75
	v_dot2c_f32_f16_e32 v20, v82, v72
	v_dot2c_f32_f16_e32 v21, v82, v73
	v_dot2c_f32_f16_e32 v18, v82, v74
	v_dot2c_f32_f16_e32 v19, v82, v75
	v_dot2c_f32_f16_e32 v34, v83, v72
	v_dot2c_f32_f16_e32 v35, v83, v73
	v_dot2c_f32_f16_e32 v30, v83, v74
	v_dot2c_f32_f16_e32 v31, v83, v75
	ds_read_b128 v[72:75], v67 offset:30720
	v_dot2c_f32_f16_e32 v6, v80, v76
	v_dot2c_f32_f16_e32 v7, v80, v77
	;; [unrolled: 1-line block ×16, first 2 shown]
	ds_read_b128 v[76:79], v67 offset:30976
	ds_read_b128 v[80:83], v66 offset:14592
	s_waitcnt lgkmcnt(2)
	v_dot2c_f32_f16_e32 v62, v68, v72
	v_dot2c_f32_f16_e32 v63, v68, v73
	;; [unrolled: 1-line block ×16, first 2 shown]
	s_waitcnt lgkmcnt(1)
	v_dot2c_f32_f16_e32 v58, v68, v76
	v_dot2c_f32_f16_e32 v59, v68, v77
	v_dot2c_f32_f16_e32 v56, v68, v78
	v_dot2c_f32_f16_e32 v57, v68, v79
	v_dot2c_f32_f16_e32 v54, v69, v76
	v_dot2c_f32_f16_e32 v55, v69, v77
	v_dot2c_f32_f16_e32 v52, v69, v78
	v_dot2c_f32_f16_e32 v53, v69, v79
	v_dot2c_f32_f16_e32 v44, v70, v76
	v_dot2c_f32_f16_e32 v45, v70, v77
	v_dot2c_f32_f16_e32 v40, v70, v78
	v_dot2c_f32_f16_e32 v41, v70, v79
	v_dot2c_f32_f16_e32 v38, v71, v76
	v_dot2c_f32_f16_e32 v39, v71, v77
	v_dot2c_f32_f16_e32 v36, v71, v78
	v_dot2c_f32_f16_e32 v37, v71, v79
	ds_read_b128 v[68:71], v66 offset:14848
	s_waitcnt lgkmcnt(1)
	v_dot2c_f32_f16_e32 v2, v80, v72
	v_dot2c_f32_f16_e32 v3, v80, v73
	;; [unrolled: 1-line block ×16, first 2 shown]
	ds_read_b128 v[72:75], v67 offset:31232
	v_dot2c_f32_f16_e32 v6, v80, v76
	v_dot2c_f32_f16_e32 v7, v80, v77
	;; [unrolled: 1-line block ×16, first 2 shown]
	ds_read_b128 v[76:79], v67 offset:31488
	ds_read_b128 v[80:83], v66 offset:15104
	s_waitcnt lgkmcnt(2)
	v_dot2c_f32_f16_e32 v62, v68, v72
	v_dot2c_f32_f16_e32 v63, v68, v73
	;; [unrolled: 1-line block ×16, first 2 shown]
	s_waitcnt lgkmcnt(1)
	v_dot2c_f32_f16_e32 v58, v68, v76
	v_dot2c_f32_f16_e32 v59, v68, v77
	;; [unrolled: 1-line block ×16, first 2 shown]
	ds_read_b128 v[68:71], v66 offset:15360
	s_waitcnt lgkmcnt(1)
	v_dot2c_f32_f16_e32 v2, v80, v72
	v_dot2c_f32_f16_e32 v3, v80, v73
	;; [unrolled: 1-line block ×16, first 2 shown]
	ds_read_b128 v[72:75], v67 offset:31744
	v_dot2c_f32_f16_e32 v6, v80, v76
	v_dot2c_f32_f16_e32 v7, v80, v77
	;; [unrolled: 1-line block ×16, first 2 shown]
	ds_read_b128 v[76:79], v67 offset:32000
	ds_read_b128 v[80:83], v66 offset:15616
	s_waitcnt lgkmcnt(2)
	v_dot2c_f32_f16_e32 v62, v68, v72
	v_dot2c_f32_f16_e32 v63, v68, v73
	v_dot2c_f32_f16_e32 v60, v68, v74
	v_dot2c_f32_f16_e32 v61, v68, v75
	v_dot2c_f32_f16_e32 v50, v69, v72
	v_dot2c_f32_f16_e32 v51, v69, v73
	v_dot2c_f32_f16_e32 v48, v69, v74
	v_dot2c_f32_f16_e32 v49, v69, v75
	v_dot2c_f32_f16_e32 v46, v70, v72
	v_dot2c_f32_f16_e32 v47, v70, v73
	v_dot2c_f32_f16_e32 v42, v70, v74
	v_dot2c_f32_f16_e32 v43, v70, v75
	v_dot2c_f32_f16_e32 v28, v71, v72
	v_dot2c_f32_f16_e32 v29, v71, v73
	v_dot2c_f32_f16_e32 v26, v71, v74
	v_dot2c_f32_f16_e32 v27, v71, v75
	s_waitcnt lgkmcnt(1)
	v_dot2c_f32_f16_e32 v58, v68, v76
	v_dot2c_f32_f16_e32 v59, v68, v77
	;; [unrolled: 1-line block ×16, first 2 shown]
	ds_read_b128 v[68:71], v66 offset:15872
	s_waitcnt lgkmcnt(1)
	v_dot2c_f32_f16_e32 v2, v80, v72
	v_dot2c_f32_f16_e32 v3, v80, v73
	;; [unrolled: 1-line block ×16, first 2 shown]
	ds_read_b128 v[72:75], v67 offset:32256
	v_dot2c_f32_f16_e32 v6, v80, v76
	v_dot2c_f32_f16_e32 v7, v80, v77
	;; [unrolled: 1-line block ×16, first 2 shown]
	ds_read_b128 v[76:79], v67 offset:32512
	ds_read_b128 v[80:83], v66 offset:16128
	buffer_load_dwordx2 v[66:67], v65, s[20:23], 0 offen
	v_add_lshl_u32 v65, v64, s14, 1
	v_add_u32_e32 v84, s34, v64
	s_waitcnt lgkmcnt(2)
	v_dot2c_f32_f16_e32 v62, v68, v72
	v_dot2c_f32_f16_e32 v63, v68, v73
	;; [unrolled: 1-line block ×8, first 2 shown]
	s_waitcnt lgkmcnt(1)
	v_dot2c_f32_f16_e32 v58, v68, v76
	v_dot2c_f32_f16_e32 v59, v68, v77
	;; [unrolled: 1-line block ×8, first 2 shown]
	buffer_load_dwordx2 v[68:69], v65, s[20:23], 0 offen
	v_add_u32_e32 v86, s34, v84
	v_dot2c_f32_f16_e32 v46, v70, v72
	v_dot2c_f32_f16_e32 v47, v70, v73
	;; [unrolled: 1-line block ×9, first 2 shown]
	s_waitcnt lgkmcnt(0)
	v_dot2c_f32_f16_e32 v2, v80, v72
	v_dot2c_f32_f16_e32 v14, v81, v72
	;; [unrolled: 1-line block ×3, first 2 shown]
	v_lshlrev_b32_e32 v64, 1, v84
	v_add_lshl_u32 v70, v84, s14, 1
	v_dot2c_f32_f16_e32 v34, v83, v72
	v_lshlrev_b32_e32 v72, 1, v86
	v_dot2c_f32_f16_e32 v29, v71, v73
	v_dot2c_f32_f16_e32 v26, v71, v74
	;; [unrolled: 1-line block ×7, first 2 shown]
	buffer_load_dwordx2 v[70:71], v70, s[20:23], 0 offen
	v_dot2c_f32_f16_e32 v3, v80, v73
	buffer_load_dwordx2 v[84:85], v72, s[20:23], 0 offen
	v_add_lshl_u32 v72, v86, s14, 1
	buffer_load_dwordx2 v[64:65], v64, s[20:23], 0 offen
	v_dot2c_f32_f16_e32 v0, v80, v74
	v_dot2c_f32_f16_e32 v15, v81, v73
	;; [unrolled: 1-line block ×6, first 2 shown]
	buffer_load_dwordx2 v[72:73], v72, s[20:23], 0 offen
	v_dot2c_f32_f16_e32 v30, v83, v74
	v_add_u32_e32 v74, s34, v86
	v_dot2c_f32_f16_e32 v1, v80, v75
	v_dot2c_f32_f16_e32 v11, v81, v75
	;; [unrolled: 1-line block ×4, first 2 shown]
	v_lshlrev_b32_e32 v75, 1, v74
	buffer_load_dwordx2 v[86:87], v75, s[20:23], 0 offen
	v_add_lshl_u32 v75, v74, s14, 1
	buffer_load_dwordx2 v[88:89], v75, s[20:23], 0 offen
	v_dot2c_f32_f16_e32 v6, v80, v76
	v_dot2c_f32_f16_e32 v12, v81, v76
	;; [unrolled: 1-line block ×4, first 2 shown]
	v_add_u32_e32 v76, 64, v90
	v_cmp_gt_i32_e64 s[2:3], s33, v90
	v_cmp_gt_i32_e32 vcc, s13, v91
	v_cmp_gt_i32_e64 s[4:5], s33, v76
	s_load_dwordx2 s[10:11], s[0:1], 0x1a8
	s_load_dword s12, s[0:1], 0x1b4
	s_load_dword s24, s[0:1], 0x1c0
	;; [unrolled: 1-line block ×3, first 2 shown]
	v_dot2c_f32_f16_e32 v5, v80, v79
	v_dot2c_f32_f16_e32 v9, v81, v79
	;; [unrolled: 1-line block ×4, first 2 shown]
	s_and_b64 s[0:1], vcc, s[2:3]
	s_and_b64 vcc, vcc, s[4:5]
	v_or_b32_e32 v79, 1, v91
	v_dot2c_f32_f16_e32 v7, v80, v77
	v_dot2c_f32_f16_e32 v4, v80, v78
	v_dot2c_f32_f16_e32 v13, v81, v77
	v_dot2c_f32_f16_e32 v8, v81, v78
	v_dot2c_f32_f16_e32 v25, v82, v77
	v_dot2c_f32_f16_e32 v22, v82, v78
	v_dot2c_f32_f16_e32 v33, v83, v77
	v_dot2c_f32_f16_e32 v16, v83, v78
	s_waitcnt vmcnt(7)
	v_cndmask_b32_e64 v75, 0, v67, s[0:1]
	v_cndmask_b32_e64 v67, 0, v66, s[0:1]
	v_or_b32_e32 v92, 2, v91
	v_cvt_f32_f16_e32 v66, v67
	v_cvt_f32_f16_sdwa v67, v67 dst_sel:DWORD dst_unused:UNUSED_PAD src0_sel:WORD_1
	s_waitcnt lgkmcnt(0)
	v_cmp_gt_i32_e64 s[6:7], s12, v91
	s_lshl_b32 s18, s8, 1
	s_mov_b32 s19, s39
	v_pk_add_f32 v[62:63], v[62:63], v[66:67]
	s_waitcnt vmcnt(6)
	v_cndmask_b32_e32 v77, 0, v69, vcc
	v_cndmask_b32_e32 v78, 0, v68, vcc
	v_cmp_gt_i32_e32 vcc, s13, v79
	s_and_b64 s[0:1], vcc, s[2:3]
	s_and_b64 vcc, vcc, s[4:5]
	v_cvt_f32_f16_e32 v68, v75
	v_cvt_f32_f16_sdwa v69, v75 dst_sel:DWORD dst_unused:UNUSED_PAD src0_sel:WORD_1
	v_max_f32_e32 v63, 0, v63
	v_max_f32_e32 v62, 0, v62
	v_cvt_pk_f16_f32 v62, v62, v63
	v_pk_add_f32 v[60:61], v[60:61], v[68:69]
	s_waitcnt vmcnt(5)
	v_cndmask_b32_e32 v82, 0, v71, vcc
	v_cndmask_b32_e32 v83, 0, v70, vcc
	v_cmp_gt_i32_e32 vcc, s13, v92
	v_max_f32_e32 v61, 0, v61
	s_waitcnt vmcnt(3)
	v_cndmask_b32_e64 v80, 0, v65, s[0:1]
	v_cndmask_b32_e64 v81, 0, v64, s[0:1]
	s_and_b64 s[0:1], vcc, s[2:3]
	s_and_b64 vcc, vcc, s[4:5]
	v_cndmask_b32_e64 v85, 0, v85, s[0:1]
	v_cndmask_b32_e64 v84, 0, v84, s[0:1]
	v_max_f32_e32 v60, 0, v60
	s_waitcnt vmcnt(2)
	v_cndmask_b32_e32 v93, 0, v73, vcc
	v_cndmask_b32_e32 v94, 0, v72, vcc
	v_cmp_gt_i32_e32 vcc, s13, v95
	s_and_b64 s[0:1], vcc, s[2:3]
	s_and_b64 vcc, vcc, s[4:5]
	v_cvt_pk_f16_f32 v63, v60, v61
	v_mul_lo_u32 v60, v91, s10
	s_waitcnt vmcnt(1)
	v_cndmask_b32_e64 v87, 0, v87, s[0:1]
	v_cndmask_b32_e64 v86, 0, v86, s[0:1]
	v_mad_u64_u32 v[64:65], s[0:1], s34, 61, v[74:75]
	v_lshlrev_b32_e32 v70, 1, v64
	v_add_lshl_u32 v71, v64, s14, 1
	v_add_u32_e32 v74, s34, v64
	s_waitcnt vmcnt(0)
	v_cndmask_b32_e32 v89, 0, v89, vcc
	v_cndmask_b32_e32 v88, 0, v88, vcc
	v_lshlrev_b32_e32 v72, 1, v74
	buffer_load_dwordx2 v[64:65], v70, s[20:23], 0 offen
	buffer_load_dwordx2 v[66:67], v71, s[20:23], 0 offen
	;; [unrolled: 1-line block ×3, first 2 shown]
	v_mad_u64_u32 v[70:71], s[0:1], v90, s11, v[60:61]
	v_cmp_gt_i32_e32 vcc, s24, v90
	v_bfrev_b32_e32 v60, 1
	s_and_b64 s[0:1], s[6:7], vcc
	v_cndmask_b32_e64 v61, v60, 0, s[0:1]
	v_lshl_add_u32 v61, v70, 1, v61
	buffer_store_dwordx2 v[62:63], v61, s[16:19], 0 offen
	v_add_lshl_u32 v61, v74, s14, 1
	buffer_load_dwordx2 v[72:73], v61, s[20:23], 0 offen
	v_cvt_f32_f16_e32 v62, v78
	v_cvt_f32_f16_sdwa v63, v78 dst_sel:DWORD dst_unused:UNUSED_PAD src0_sel:WORD_1
	v_or_b32_e32 v71, 0x41, v91
	s_lshl_b32 s11, s11, 6
	v_add_u32_e32 v74, s34, v74
	v_pk_add_f32 v[62:63], v[58:59], v[62:63]
	v_or_b32_e32 v58, 64, v91
	v_cmp_gt_i32_e64 s[0:1], s13, v58
	s_and_b64 s[8:9], s[0:1], s[2:3]
	s_and_b64 s[0:1], s[0:1], s[4:5]
	v_max_f32_e32 v63, 0, v63
	v_max_f32_e32 v62, 0, v62
	v_lshlrev_b32_e32 v75, 1, v74
	s_waitcnt vmcnt(4)
	v_cndmask_b32_e64 v59, 0, v65, s[8:9]
	v_cndmask_b32_e64 v61, 0, v64, s[8:9]
	v_cvt_f32_f16_e32 v64, v77
	v_cvt_f32_f16_sdwa v65, v77 dst_sel:DWORD dst_unused:UNUSED_PAD src0_sel:WORD_1
	s_waitcnt vmcnt(3)
	v_cndmask_b32_e64 v67, 0, v67, s[0:1]
	v_cndmask_b32_e64 v66, 0, v66, s[0:1]
	v_cmp_gt_i32_e64 s[0:1], s13, v71
	s_and_b64 s[8:9], s[0:1], s[2:3]
	s_and_b64 s[0:1], s[0:1], s[4:5]
	v_pk_add_f32 v[56:57], v[56:57], v[64:65]
	v_add_u32_e32 v77, s11, v70
	v_max_f32_e32 v57, 0, v57
	s_waitcnt vmcnt(0)
	v_cndmask_b32_e64 v73, 0, v73, s[0:1]
	v_cndmask_b32_e64 v72, 0, v72, s[0:1]
	v_cmp_gt_i32_e64 s[0:1], s24, v76
	v_max_f32_e32 v64, 0, v56
	s_and_b64 s[6:7], s[6:7], s[0:1]
	v_cvt_pk_f16_f32 v56, v62, v63
	v_cvt_pk_f16_f32 v57, v64, v57
	v_cvt_f32_f16_e32 v62, v83
	v_cvt_f32_f16_sdwa v63, v83 dst_sel:DWORD dst_unused:UNUSED_PAD src0_sel:WORD_1
	v_cndmask_b32_e64 v64, v60, 0, s[6:7]
	v_lshl_add_u32 v64, v77, 1, v64
	buffer_store_dwordx2 v[56:57], v64, s[16:19], 0 offen
	v_cvt_f32_f16_e32 v56, v82
	v_cvt_f32_f16_sdwa v57, v82 dst_sel:DWORD dst_unused:UNUSED_PAD src0_sel:WORD_1
	v_add_lshl_u32 v76, v74, s14, 1
	v_pk_add_f32 v[54:55], v[54:55], v[62:63]
	buffer_load_dwordx2 v[62:63], v75, s[20:23], 0 offen
	buffer_load_dwordx2 v[64:65], v76, s[20:23], 0 offen
	v_add_u32_e32 v74, s34, v74
	v_lshlrev_b32_e32 v75, 1, v74
	v_pk_add_f32 v[52:53], v[52:53], v[56:57]
	buffer_load_dwordx2 v[56:57], v75, s[20:23], 0 offen
	v_add_lshl_u32 v74, v74, s14, 1
	v_max_f32_e32 v75, 0, v53
	v_max_f32_e32 v76, 0, v52
	buffer_load_dwordx2 v[52:53], v74, s[20:23], 0 offen
	v_or_b32_e32 v74, 0x42, v91
	v_max_f32_e32 v55, 0, v55
	v_max_f32_e32 v54, 0, v54
	v_cmp_gt_i32_e64 s[6:7], s13, v74
	v_cndmask_b32_e64 v69, 0, v69, s[8:9]
	v_cndmask_b32_e64 v68, 0, v68, s[8:9]
	v_cvt_pk_f16_f32 v54, v54, v55
	v_cvt_pk_f16_f32 v55, v76, v75
	s_and_b64 s[8:9], s[6:7], s[2:3]
	s_and_b64 s[6:7], s[6:7], s[4:5]
	v_or_b32_e32 v75, 0x43, v91
	v_add_u32_e32 v77, s10, v77
	s_waitcnt vmcnt(3)
	v_cndmask_b32_e64 v62, 0, v62, s[8:9]
	s_waitcnt vmcnt(2)
	v_cndmask_b32_e64 v65, 0, v65, s[6:7]
	v_cndmask_b32_e64 v64, 0, v64, s[6:7]
	v_cmp_gt_i32_e64 s[6:7], s13, v75
	s_and_b64 s[2:3], s[6:7], s[2:3]
	s_waitcnt vmcnt(1)
	v_cndmask_b32_e64 v57, 0, v57, s[2:3]
	v_cndmask_b32_e64 v56, 0, v56, s[2:3]
	s_and_b64 s[2:3], s[6:7], s[4:5]
	s_lshl_b32 s6, s10, 6
	s_waitcnt vmcnt(0)
	v_cndmask_b32_e64 v76, 0, v53, s[2:3]
	v_cndmask_b32_e64 v78, 0, v52, s[2:3]
	v_cvt_f32_f16_e32 v52, v81
	v_cvt_f32_f16_sdwa v53, v81 dst_sel:DWORD dst_unused:UNUSED_PAD src0_sel:WORD_1
	v_cmp_gt_i32_e64 s[2:3], s12, v79
	s_and_b64 s[4:5], s[2:3], s[0:1]
	v_cndmask_b32_e64 v79, v60, 0, s[4:5]
	v_pk_add_f32 v[50:51], v[50:51], v[52:53]
	v_cvt_f32_f16_e32 v52, v80
	v_cvt_f32_f16_sdwa v53, v80 dst_sel:DWORD dst_unused:UNUSED_PAD src0_sel:WORD_1
	v_max_f32_e32 v51, 0, v51
	v_max_f32_e32 v50, 0, v50
	v_cvt_pk_f16_f32 v50, v50, v51
	v_pk_add_f32 v[48:49], v[48:49], v[52:53]
	v_lshl_add_u32 v79, v77, 1, v79
	v_max_f32_e32 v49, 0, v49
	v_max_f32_e32 v48, 0, v48
	v_cvt_pk_f16_f32 v51, v48, v49
	v_cvt_f32_f16_e32 v48, v84
	v_cvt_f32_f16_sdwa v49, v84 dst_sel:DWORD dst_unused:UNUSED_PAD src0_sel:WORD_1
	s_and_b64 s[2:3], s[2:3], vcc
	buffer_store_dwordx2 v[54:55], v79, s[16:19], 0 offen
	v_add_u32_e32 v54, s10, v70
	v_pk_add_f32 v[46:47], v[46:47], v[48:49]
	v_cvt_f32_f16_e32 v48, v85
	v_cvt_f32_f16_sdwa v49, v85 dst_sel:DWORD dst_unused:UNUSED_PAD src0_sel:WORD_1
	v_max_f32_e32 v47, 0, v47
	v_max_f32_e32 v46, 0, v46
	v_cvt_pk_f16_f32 v46, v46, v47
	v_pk_add_f32 v[42:43], v[42:43], v[48:49]
	v_cndmask_b32_e64 v52, v60, 0, s[2:3]
	v_max_f32_e32 v43, 0, v43
	v_max_f32_e32 v42, 0, v42
	v_cvt_pk_f16_f32 v47, v42, v43
	v_cvt_f32_f16_e32 v42, v94
	v_cvt_f32_f16_sdwa v43, v94 dst_sel:DWORD dst_unused:UNUSED_PAD src0_sel:WORD_1
	v_cmp_gt_i32_e64 s[2:3], s12, v92
	v_lshl_add_u32 v52, v54, 1, v52
	s_and_b64 s[4:5], s[2:3], vcc
	v_pk_add_f32 v[42:43], v[44:45], v[42:43]
	v_cvt_f32_f16_e32 v44, v93
	v_cvt_f32_f16_sdwa v45, v93 dst_sel:DWORD dst_unused:UNUSED_PAD src0_sel:WORD_1
	v_max_f32_e32 v43, 0, v43
	v_max_f32_e32 v42, 0, v42
	v_cvt_pk_f16_f32 v42, v42, v43
	v_pk_add_f32 v[40:41], v[40:41], v[44:45]
	buffer_store_dwordx2 v[50:51], v52, s[16:19], 0 offen
	v_max_f32_e32 v41, 0, v41
	v_max_f32_e32 v40, 0, v40
	v_cvt_pk_f16_f32 v43, v40, v41
	v_cvt_f32_f16_e32 v40, v88
	v_cvt_f32_f16_sdwa v41, v88 dst_sel:DWORD dst_unused:UNUSED_PAD src0_sel:WORD_1
	v_add_u32_e32 v50, s10, v54
	v_cndmask_b32_e64 v48, v60, 0, s[4:5]
	v_lshl_add_u32 v48, v50, 1, v48
	v_pk_add_f32 v[38:39], v[38:39], v[40:41]
	v_cvt_f32_f16_e32 v40, v89
	v_cvt_f32_f16_sdwa v41, v89 dst_sel:DWORD dst_unused:UNUSED_PAD src0_sel:WORD_1
	v_max_f32_e32 v39, 0, v39
	v_max_f32_e32 v38, 0, v38
	v_cvt_pk_f16_f32 v38, v38, v39
	v_pk_add_f32 v[36:37], v[36:37], v[40:41]
	s_and_b64 s[2:3], s[2:3], s[0:1]
	v_max_f32_e32 v37, 0, v37
	v_max_f32_e32 v36, 0, v36
	v_cvt_pk_f16_f32 v39, v36, v37
	v_cvt_f32_f16_e32 v36, v86
	v_cvt_f32_f16_sdwa v37, v86 dst_sel:DWORD dst_unused:UNUSED_PAD src0_sel:WORD_1
	buffer_store_dwordx2 v[46:47], v48, s[16:19], 0 offen
	v_add_u32_e32 v46, s10, v77
	v_cndmask_b32_e64 v44, v60, 0, s[2:3]
	v_pk_add_f32 v[28:29], v[28:29], v[36:37]
	v_cvt_f32_f16_e32 v36, v87
	v_cvt_f32_f16_sdwa v37, v87 dst_sel:DWORD dst_unused:UNUSED_PAD src0_sel:WORD_1
	v_cmp_gt_i32_e64 s[2:3], s12, v95
	v_lshl_add_u32 v44, v46, 1, v44
	s_and_b64 s[4:5], s[2:3], s[0:1]
	buffer_store_dwordx2 v[42:43], v44, s[16:19], 0 offen
	v_add_u32_e32 v42, s10, v46
	v_cndmask_b32_e64 v40, v60, 0, s[4:5]
	v_pk_add_f32 v[26:27], v[26:27], v[36:37]
	v_lshl_add_u32 v40, v42, 1, v40
	v_max_f32_e32 v29, 0, v29
	v_max_f32_e32 v28, 0, v28
	;; [unrolled: 1-line block ×4, first 2 shown]
	s_and_b64 s[2:3], s[2:3], vcc
	buffer_store_dwordx2 v[38:39], v40, s[16:19], 0 offen
	v_subrev_u32_e32 v38, s11, v42
	v_cvt_pk_f16_f32 v28, v28, v29
	v_cvt_pk_f16_f32 v29, v26, v27
	v_cndmask_b32_e64 v26, v60, 0, s[2:3]
	v_lshl_add_u32 v36, v38, 1, v26
	v_cvt_f32_f16_e32 v26, v56
	v_cvt_f32_f16_sdwa v27, v56 dst_sel:DWORD dst_unused:UNUSED_PAD src0_sel:WORD_1
	buffer_store_dwordx2 v[28:29], v36, s[16:19], 0 offen
	v_cvt_f32_f16_e32 v28, v57
	v_cvt_f32_f16_sdwa v29, v57 dst_sel:DWORD dst_unused:UNUSED_PAD src0_sel:WORD_1
	v_pk_add_f32 v[26:27], v[34:35], v[26:27]
	v_cmp_gt_i32_e64 s[2:3], s12, v75
	v_max_f32_e32 v27, 0, v27
	v_max_f32_e32 v26, 0, v26
	v_pk_add_f32 v[28:29], v[30:31], v[28:29]
	v_cvt_pk_f16_f32 v26, v26, v27
	v_max_f32_e32 v27, 0, v29
	v_max_f32_e32 v28, 0, v28
	v_cvt_pk_f16_f32 v27, v28, v27
	v_cvt_f32_f16_e32 v28, v78
	v_cvt_f32_f16_sdwa v29, v78 dst_sel:DWORD dst_unused:UNUSED_PAD src0_sel:WORD_1
	s_and_b64 s[4:5], s[2:3], vcc
	v_add_u32_e32 v36, s6, v38
	v_cndmask_b32_e64 v30, v60, 0, s[4:5]
	v_lshl_add_u32 v30, v36, 1, v30
	buffer_store_dwordx2 v[26:27], v30, s[16:19], 0 offen
	v_pk_add_f32 v[26:27], v[32:33], v[28:29]
	v_cvt_f32_f16_e32 v28, v76
	v_cvt_f32_f16_sdwa v29, v76 dst_sel:DWORD dst_unused:UNUSED_PAD src0_sel:WORD_1
	v_max_f32_e32 v27, 0, v27
	v_max_f32_e32 v26, 0, v26
	v_cvt_pk_f16_f32 v26, v26, v27
	v_pk_add_f32 v[16:17], v[16:17], v[28:29]
	s_and_b64 s[2:3], s[2:3], s[0:1]
	v_max_f32_e32 v17, 0, v17
	v_max_f32_e32 v16, 0, v16
	v_cvt_pk_f16_f32 v27, v16, v17
	v_cvt_f32_f16_e32 v16, v64
	v_cvt_f32_f16_sdwa v17, v64 dst_sel:DWORD dst_unused:UNUSED_PAD src0_sel:WORD_1
	v_add_u32_e32 v30, s6, v42
	v_cndmask_b32_e64 v28, v60, 0, s[2:3]
	v_cmp_ge_i32_e64 s[2:3], s12, v75
	v_pk_add_f32 v[16:17], v[24:25], v[16:17]
	v_cvt_f32_f16_e32 v24, v65
	v_cvt_f32_f16_sdwa v25, v65 dst_sel:DWORD dst_unused:UNUSED_PAD src0_sel:WORD_1
	v_max_f32_e32 v17, 0, v17
	v_max_f32_e32 v16, 0, v16
	v_cvt_pk_f16_f32 v16, v16, v17
	v_pk_add_f32 v[22:23], v[22:23], v[24:25]
	v_lshl_add_u32 v28, v30, 1, v28
	v_max_f32_e32 v17, 0, v23
	v_max_f32_e32 v22, 0, v22
	v_cvt_pk_f16_f32 v17, v22, v17
	v_cvt_f32_f16_e32 v22, v62
	v_cvt_f32_f16_sdwa v23, v62 dst_sel:DWORD dst_unused:UNUSED_PAD src0_sel:WORD_1
	s_and_b64 s[2:3], s[2:3], s[0:1]
	buffer_store_dwordx2 v[26:27], v28, s[16:19], 0 offen
	v_add_u32_e32 v26, s6, v46
	v_cndmask_b32_e64 v24, v60, 0, s[2:3]
	v_cndmask_b32_e64 v63, 0, v63, s[8:9]
	v_lshl_add_u32 v24, v26, 1, v24
	buffer_store_dwordx2 v[16:17], v24, s[16:19], 0 offen
	v_pk_add_f32 v[16:17], v[20:21], v[22:23]
	v_cvt_f32_f16_e32 v20, v63
	v_cvt_f32_f16_sdwa v21, v63 dst_sel:DWORD dst_unused:UNUSED_PAD src0_sel:WORD_1
	v_cmp_gt_i32_e64 s[2:3], s12, v74
	v_max_f32_e32 v17, 0, v17
	v_max_f32_e32 v16, 0, v16
	v_pk_add_f32 v[18:19], v[18:19], v[20:21]
	s_and_b64 s[2:3], s[2:3], vcc
	v_subrev_u32_e32 v24, s11, v26
	v_cvt_pk_f16_f32 v16, v16, v17
	v_max_f32_e32 v17, 0, v19
	v_max_f32_e32 v18, 0, v18
	v_cndmask_b32_e64 v20, v60, 0, s[2:3]
	v_cvt_pk_f16_f32 v17, v18, v17
	v_lshl_add_u32 v20, v24, 1, v20
	v_cvt_f32_f16_e32 v18, v68
	v_cvt_f32_f16_sdwa v19, v68 dst_sel:DWORD dst_unused:UNUSED_PAD src0_sel:WORD_1
	buffer_store_dwordx2 v[16:17], v20, s[16:19], 0 offen
	v_cvt_f32_f16_e32 v16, v69
	v_cvt_f32_f16_sdwa v17, v69 dst_sel:DWORD dst_unused:UNUSED_PAD src0_sel:WORD_1
	v_pk_add_f32 v[14:15], v[14:15], v[18:19]
	v_cmp_ge_i32_e64 s[2:3], s12, v74
	v_max_f32_e32 v15, 0, v15
	v_pk_add_f32 v[10:11], v[10:11], v[16:17]
	v_max_f32_e32 v14, 0, v14
	v_max_f32_e32 v11, 0, v11
	;; [unrolled: 1-line block ×3, first 2 shown]
	v_cvt_pk_f16_f32 v14, v14, v15
	v_cvt_pk_f16_f32 v15, v10, v11
	v_cvt_f32_f16_e32 v10, v72
	v_cvt_f32_f16_sdwa v11, v72 dst_sel:DWORD dst_unused:UNUSED_PAD src0_sel:WORD_1
	s_and_b64 s[2:3], s[2:3], vcc
	v_subrev_u32_e32 v20, s10, v24
	v_cndmask_b32_e64 v16, v60, 0, s[2:3]
	v_pk_add_f32 v[10:11], v[12:13], v[10:11]
	v_cvt_f32_f16_e32 v12, v73
	v_cvt_f32_f16_sdwa v13, v73 dst_sel:DWORD dst_unused:UNUSED_PAD src0_sel:WORD_1
	v_max_f32_e32 v11, 0, v11
	v_max_f32_e32 v10, 0, v10
	v_cvt_pk_f16_f32 v10, v10, v11
	v_pk_add_f32 v[8:9], v[8:9], v[12:13]
	v_cmp_gt_i32_e64 s[2:3], s12, v71
	v_max_f32_e32 v9, 0, v9
	v_max_f32_e32 v8, 0, v8
	v_cvt_pk_f16_f32 v11, v8, v9
	v_cvt_f32_f16_e32 v8, v66
	v_cvt_f32_f16_sdwa v9, v66 dst_sel:DWORD dst_unused:UNUSED_PAD src0_sel:WORD_1
	v_lshl_add_u32 v16, v20, 1, v16
	s_and_b64 s[2:3], s[2:3], s[0:1]
	buffer_store_dwordx2 v[14:15], v16, s[16:19], 0 offen
	v_pk_add_f32 v[6:7], v[6:7], v[8:9]
	v_cvt_f32_f16_e32 v8, v67
	v_cvt_f32_f16_sdwa v9, v67 dst_sel:DWORD dst_unused:UNUSED_PAD src0_sel:WORD_1
	v_max_f32_e32 v7, 0, v7
	v_max_f32_e32 v6, 0, v6
	v_cvt_pk_f16_f32 v6, v6, v7
	v_pk_add_f32 v[4:5], v[4:5], v[8:9]
	v_add_u32_e32 v14, s11, v20
	v_max_f32_e32 v5, 0, v5
	v_max_f32_e32 v4, 0, v4
	v_cvt_pk_f16_f32 v7, v4, v5
	v_cvt_f32_f16_e32 v4, v61
	v_cvt_f32_f16_sdwa v5, v61 dst_sel:DWORD dst_unused:UNUSED_PAD src0_sel:WORD_1
	v_cndmask_b32_e64 v12, v60, 0, s[2:3]
	v_cmp_ge_i32_e64 s[2:3], s12, v71
	v_lshl_add_u32 v12, v14, 1, v12
	v_pk_add_f32 v[2:3], v[2:3], v[4:5]
	v_cvt_f32_f16_e32 v4, v59
	v_cvt_f32_f16_sdwa v5, v59 dst_sel:DWORD dst_unused:UNUSED_PAD src0_sel:WORD_1
	s_and_b64 s[0:1], s[2:3], s[0:1]
	buffer_store_dwordx2 v[10:11], v12, s[16:19], 0 offen
	v_subrev_u32_e32 v10, s10, v14
	v_cndmask_b32_e64 v8, v60, 0, s[0:1]
	v_pk_add_f32 v[0:1], v[0:1], v[4:5]
	v_cmp_gt_i32_e64 s[0:1], s12, v58
	v_lshl_add_u32 v8, v10, 1, v8
	v_max_f32_e32 v3, 0, v3
	v_max_f32_e32 v2, 0, v2
	;; [unrolled: 1-line block ×4, first 2 shown]
	s_and_b64 s[0:1], s[0:1], vcc
	buffer_store_dwordx2 v[6:7], v8, s[16:19], 0 offen
	v_subrev_u32_e32 v6, s11, v10
	v_cvt_pk_f16_f32 v2, v2, v3
	v_cvt_pk_f16_f32 v3, v0, v1
	v_cndmask_b32_e64 v0, v60, 0, s[0:1]
	v_lshl_add_u32 v0, v6, 1, v0
	buffer_store_dwordx2 v[2:3], v0, s[16:19], 0 offen
	s_endpgm
	.section	.rodata,"a",@progbits
	.p2align	6, 0x0
	.amdhsa_kernel _ZN2ck16tensor_operation6device12_GLOBAL__N_137kernel_grouped_conv_fwd_dl_multiple_dINS_32GridwiseGemmDlMultipleD_km_kn_mnILi256EDF16_fNS_5TupleIJDF16_EEEDF16_NS0_12element_wise11PassThroughES8_NS7_7AddReluELNS_25InMemoryDataOperationEnumE0ENS_16TensorDescriptorINS5_IJNS_5EmbedINS5_IJiiiEEESD_Lb0EEENS_11PassThroughIiEENS_3PadIiiiLb0EEESG_SG_NSC_INS5_IJiiEEESJ_Lb0EEESG_NS_23Merge_v2_magic_divisionISJ_EESM_NS_8RightPadIiiLb0EEESO_NS_7UnMergeISJ_Lb0EEESG_EEENS5_IJNS_8SequenceIJLi0EEEENSS_IJLi1EEEENSS_IJLi2EEEENSS_IJLi3EEEENSS_IJLi4EEEENSS_IJLi5EEEENSS_IJLi6EEEENSS_IJLi7ELi9EEEENSS_IJLi8ELi10EEEENSS_IJLi11EEEENSS_IJLi12EEEENSS_IJLi14EEEENSS_IJLi13EEEEEEENS5_IJNSS_IJLi1ELi2ELi3EEEESX_SY_SZ_NSS_IJLi7EEEENSS_IJLi8ELi9EEEENSS_IJLi10EEEES12_S13_S15_S14_NSS_IJLi15ELi16EEEENSS_IJLi17EEEEEEENSS_IJLi15ELi17ELi16EEEElEENSB_INS5_IJSQ_SO_SO_SQ_SG_EEENS5_IJST_SU_SV_SX_SW_EEENS5_IJNSS_IJLi1ELi2EEEESW_SX_NSS_IJLi5ELi6EEEES18_EEENSS_IJLi5ELi7ELi6EEEElEENSB_INS5_IJSK_SO_SO_EEENS5_IJST_SU_SV_EEENS5_IJS1I_SW_SX_EEENSS_IJLi3ELi4EEEElEELi128ELi128ELi16ELi2ELi4ELi4ELi1ENSS_IJLi8ELi2EEEES1S_NSS_IJLi8ELi1ELi1ELi2EEEENSS_IJLi2ELi1ELi128ELi1EEEENSS_IJLi1ELi2ELi0ELi3EEEES1V_NSS_IJLi4ELi1ELi1ELi2EEEES1V_NSS_IJLi1ELi1ELi1ELi2EEEES1T_S1U_S1V_S1V_S1W_S1V_S1X_NSS_IJLi0ELi1ELi2ELi3ELi4ELi5EEEELi5ELi4EEEDF16_NS5_IJPKDF16_EEEDF16_S8_S8_S9_NSB_INS5_IJSE_SG_SI_SG_SG_SK_SG_SM_SM_SO_SO_SQ_SG_SG_NSP_INS5_IJiNS_17integral_constantIiLi128EEEEEELb0EEENSF_INS23_IiLi2EEEEEEEENS5_IJST_SU_SV_SW_SX_SY_SZ_S10_S11_S12_S13_S14_S15_NSS_IJLi15EEEES1C_NSS_IJLi16EEEEEEENS5_IJS17_SX_SY_SZ_S18_S19_S1A_S12_S13_S15_S14_S1B_S1C_NSS_IJLi18EEEENSS_IJLi19ELi20EEEENSS_IJLi21EEEEEEENSS_IJLi18ELi19ELi20ELi21EEEElEENSB_INS5_IJSQ_SO_SO_SQ_SG_SG_S26_S28_EEENS5_IJST_SU_SV_SX_SW_SY_S18_SZ_EEENS5_IJS1I_SW_SX_S1J_S18_NSS_IJLi8EEEENSS_IJLi9ELi10EEEES12_EEENSS_IJLi8ELi9ELi10ELi11EEEElEENS5_IJNSB_INS5_IJSK_SO_SO_NSP_INS5_IJiS27_NS23_IiLi64EEEEEELb0EEES2S_EEENS5_IJST_SU_SV_SW_SX_EEENS5_IJS1I_SW_SX_NSS_IJLi5ELi6ELi7EEEENSS_IJLi8ELi9ELi10EEEEEEENSS_IJLi5ELi6ELi7ELi8ELi9ELi10EEEElEEEEES2Z_NS_31BlockToCTileMap_M00_N00_M01_N01ILi128ELi128ES1R_Lb0EEENS1_30ComputePtrOffsetOfStridedBatchILi1ELi1ELi1EvEELb0ELb1EEEvPKT0_S37_T1_PT2_T3_T4_T5_iT6_T7_T8_T9_T10_T11_
		.amdhsa_group_segment_fixed_size 32768
		.amdhsa_private_segment_fixed_size 0
		.amdhsa_kernarg_size 904
		.amdhsa_user_sgpr_count 2
		.amdhsa_user_sgpr_dispatch_ptr 0
		.amdhsa_user_sgpr_queue_ptr 0
		.amdhsa_user_sgpr_kernarg_segment_ptr 1
		.amdhsa_user_sgpr_dispatch_id 0
		.amdhsa_user_sgpr_kernarg_preload_length 0
		.amdhsa_user_sgpr_kernarg_preload_offset 0
		.amdhsa_user_sgpr_private_segment_size 0
		.amdhsa_uses_dynamic_stack 0
		.amdhsa_enable_private_segment 0
		.amdhsa_system_sgpr_workgroup_id_x 1
		.amdhsa_system_sgpr_workgroup_id_y 0
		.amdhsa_system_sgpr_workgroup_id_z 0
		.amdhsa_system_sgpr_workgroup_info 0
		.amdhsa_system_vgpr_workitem_id 0
		.amdhsa_next_free_vgpr 101
		.amdhsa_next_free_sgpr 96
		.amdhsa_accum_offset 104
		.amdhsa_reserve_vcc 1
		.amdhsa_float_round_mode_32 0
		.amdhsa_float_round_mode_16_64 0
		.amdhsa_float_denorm_mode_32 3
		.amdhsa_float_denorm_mode_16_64 3
		.amdhsa_dx10_clamp 1
		.amdhsa_ieee_mode 1
		.amdhsa_fp16_overflow 0
		.amdhsa_tg_split 0
		.amdhsa_exception_fp_ieee_invalid_op 0
		.amdhsa_exception_fp_denorm_src 0
		.amdhsa_exception_fp_ieee_div_zero 0
		.amdhsa_exception_fp_ieee_overflow 0
		.amdhsa_exception_fp_ieee_underflow 0
		.amdhsa_exception_fp_ieee_inexact 0
		.amdhsa_exception_int_div_zero 0
	.end_amdhsa_kernel
	.section	.text._ZN2ck16tensor_operation6device12_GLOBAL__N_137kernel_grouped_conv_fwd_dl_multiple_dINS_32GridwiseGemmDlMultipleD_km_kn_mnILi256EDF16_fNS_5TupleIJDF16_EEEDF16_NS0_12element_wise11PassThroughES8_NS7_7AddReluELNS_25InMemoryDataOperationEnumE0ENS_16TensorDescriptorINS5_IJNS_5EmbedINS5_IJiiiEEESD_Lb0EEENS_11PassThroughIiEENS_3PadIiiiLb0EEESG_SG_NSC_INS5_IJiiEEESJ_Lb0EEESG_NS_23Merge_v2_magic_divisionISJ_EESM_NS_8RightPadIiiLb0EEESO_NS_7UnMergeISJ_Lb0EEESG_EEENS5_IJNS_8SequenceIJLi0EEEENSS_IJLi1EEEENSS_IJLi2EEEENSS_IJLi3EEEENSS_IJLi4EEEENSS_IJLi5EEEENSS_IJLi6EEEENSS_IJLi7ELi9EEEENSS_IJLi8ELi10EEEENSS_IJLi11EEEENSS_IJLi12EEEENSS_IJLi14EEEENSS_IJLi13EEEEEEENS5_IJNSS_IJLi1ELi2ELi3EEEESX_SY_SZ_NSS_IJLi7EEEENSS_IJLi8ELi9EEEENSS_IJLi10EEEES12_S13_S15_S14_NSS_IJLi15ELi16EEEENSS_IJLi17EEEEEEENSS_IJLi15ELi17ELi16EEEElEENSB_INS5_IJSQ_SO_SO_SQ_SG_EEENS5_IJST_SU_SV_SX_SW_EEENS5_IJNSS_IJLi1ELi2EEEESW_SX_NSS_IJLi5ELi6EEEES18_EEENSS_IJLi5ELi7ELi6EEEElEENSB_INS5_IJSK_SO_SO_EEENS5_IJST_SU_SV_EEENS5_IJS1I_SW_SX_EEENSS_IJLi3ELi4EEEElEELi128ELi128ELi16ELi2ELi4ELi4ELi1ENSS_IJLi8ELi2EEEES1S_NSS_IJLi8ELi1ELi1ELi2EEEENSS_IJLi2ELi1ELi128ELi1EEEENSS_IJLi1ELi2ELi0ELi3EEEES1V_NSS_IJLi4ELi1ELi1ELi2EEEES1V_NSS_IJLi1ELi1ELi1ELi2EEEES1T_S1U_S1V_S1V_S1W_S1V_S1X_NSS_IJLi0ELi1ELi2ELi3ELi4ELi5EEEELi5ELi4EEEDF16_NS5_IJPKDF16_EEEDF16_S8_S8_S9_NSB_INS5_IJSE_SG_SI_SG_SG_SK_SG_SM_SM_SO_SO_SQ_SG_SG_NSP_INS5_IJiNS_17integral_constantIiLi128EEEEEELb0EEENSF_INS23_IiLi2EEEEEEEENS5_IJST_SU_SV_SW_SX_SY_SZ_S10_S11_S12_S13_S14_S15_NSS_IJLi15EEEES1C_NSS_IJLi16EEEEEEENS5_IJS17_SX_SY_SZ_S18_S19_S1A_S12_S13_S15_S14_S1B_S1C_NSS_IJLi18EEEENSS_IJLi19ELi20EEEENSS_IJLi21EEEEEEENSS_IJLi18ELi19ELi20ELi21EEEElEENSB_INS5_IJSQ_SO_SO_SQ_SG_SG_S26_S28_EEENS5_IJST_SU_SV_SX_SW_SY_S18_SZ_EEENS5_IJS1I_SW_SX_S1J_S18_NSS_IJLi8EEEENSS_IJLi9ELi10EEEES12_EEENSS_IJLi8ELi9ELi10ELi11EEEElEENS5_IJNSB_INS5_IJSK_SO_SO_NSP_INS5_IJiS27_NS23_IiLi64EEEEEELb0EEES2S_EEENS5_IJST_SU_SV_SW_SX_EEENS5_IJS1I_SW_SX_NSS_IJLi5ELi6ELi7EEEENSS_IJLi8ELi9ELi10EEEEEEENSS_IJLi5ELi6ELi7ELi8ELi9ELi10EEEElEEEEES2Z_NS_31BlockToCTileMap_M00_N00_M01_N01ILi128ELi128ES1R_Lb0EEENS1_30ComputePtrOffsetOfStridedBatchILi1ELi1ELi1EvEELb0ELb1EEEvPKT0_S37_T1_PT2_T3_T4_T5_iT6_T7_T8_T9_T10_T11_,"axG",@progbits,_ZN2ck16tensor_operation6device12_GLOBAL__N_137kernel_grouped_conv_fwd_dl_multiple_dINS_32GridwiseGemmDlMultipleD_km_kn_mnILi256EDF16_fNS_5TupleIJDF16_EEEDF16_NS0_12element_wise11PassThroughES8_NS7_7AddReluELNS_25InMemoryDataOperationEnumE0ENS_16TensorDescriptorINS5_IJNS_5EmbedINS5_IJiiiEEESD_Lb0EEENS_11PassThroughIiEENS_3PadIiiiLb0EEESG_SG_NSC_INS5_IJiiEEESJ_Lb0EEESG_NS_23Merge_v2_magic_divisionISJ_EESM_NS_8RightPadIiiLb0EEESO_NS_7UnMergeISJ_Lb0EEESG_EEENS5_IJNS_8SequenceIJLi0EEEENSS_IJLi1EEEENSS_IJLi2EEEENSS_IJLi3EEEENSS_IJLi4EEEENSS_IJLi5EEEENSS_IJLi6EEEENSS_IJLi7ELi9EEEENSS_IJLi8ELi10EEEENSS_IJLi11EEEENSS_IJLi12EEEENSS_IJLi14EEEENSS_IJLi13EEEEEEENS5_IJNSS_IJLi1ELi2ELi3EEEESX_SY_SZ_NSS_IJLi7EEEENSS_IJLi8ELi9EEEENSS_IJLi10EEEES12_S13_S15_S14_NSS_IJLi15ELi16EEEENSS_IJLi17EEEEEEENSS_IJLi15ELi17ELi16EEEElEENSB_INS5_IJSQ_SO_SO_SQ_SG_EEENS5_IJST_SU_SV_SX_SW_EEENS5_IJNSS_IJLi1ELi2EEEESW_SX_NSS_IJLi5ELi6EEEES18_EEENSS_IJLi5ELi7ELi6EEEElEENSB_INS5_IJSK_SO_SO_EEENS5_IJST_SU_SV_EEENS5_IJS1I_SW_SX_EEENSS_IJLi3ELi4EEEElEELi128ELi128ELi16ELi2ELi4ELi4ELi1ENSS_IJLi8ELi2EEEES1S_NSS_IJLi8ELi1ELi1ELi2EEEENSS_IJLi2ELi1ELi128ELi1EEEENSS_IJLi1ELi2ELi0ELi3EEEES1V_NSS_IJLi4ELi1ELi1ELi2EEEES1V_NSS_IJLi1ELi1ELi1ELi2EEEES1T_S1U_S1V_S1V_S1W_S1V_S1X_NSS_IJLi0ELi1ELi2ELi3ELi4ELi5EEEELi5ELi4EEEDF16_NS5_IJPKDF16_EEEDF16_S8_S8_S9_NSB_INS5_IJSE_SG_SI_SG_SG_SK_SG_SM_SM_SO_SO_SQ_SG_SG_NSP_INS5_IJiNS_17integral_constantIiLi128EEEEEELb0EEENSF_INS23_IiLi2EEEEEEEENS5_IJST_SU_SV_SW_SX_SY_SZ_S10_S11_S12_S13_S14_S15_NSS_IJLi15EEEES1C_NSS_IJLi16EEEEEEENS5_IJS17_SX_SY_SZ_S18_S19_S1A_S12_S13_S15_S14_S1B_S1C_NSS_IJLi18EEEENSS_IJLi19ELi20EEEENSS_IJLi21EEEEEEENSS_IJLi18ELi19ELi20ELi21EEEElEENSB_INS5_IJSQ_SO_SO_SQ_SG_SG_S26_S28_EEENS5_IJST_SU_SV_SX_SW_SY_S18_SZ_EEENS5_IJS1I_SW_SX_S1J_S18_NSS_IJLi8EEEENSS_IJLi9ELi10EEEES12_EEENSS_IJLi8ELi9ELi10ELi11EEEElEENS5_IJNSB_INS5_IJSK_SO_SO_NSP_INS5_IJiS27_NS23_IiLi64EEEEEELb0EEES2S_EEENS5_IJST_SU_SV_SW_SX_EEENS5_IJS1I_SW_SX_NSS_IJLi5ELi6ELi7EEEENSS_IJLi8ELi9ELi10EEEEEEENSS_IJLi5ELi6ELi7ELi8ELi9ELi10EEEElEEEEES2Z_NS_31BlockToCTileMap_M00_N00_M01_N01ILi128ELi128ES1R_Lb0EEENS1_30ComputePtrOffsetOfStridedBatchILi1ELi1ELi1EvEELb0ELb1EEEvPKT0_S37_T1_PT2_T3_T4_T5_iT6_T7_T8_T9_T10_T11_,comdat
.Lfunc_end3:
	.size	_ZN2ck16tensor_operation6device12_GLOBAL__N_137kernel_grouped_conv_fwd_dl_multiple_dINS_32GridwiseGemmDlMultipleD_km_kn_mnILi256EDF16_fNS_5TupleIJDF16_EEEDF16_NS0_12element_wise11PassThroughES8_NS7_7AddReluELNS_25InMemoryDataOperationEnumE0ENS_16TensorDescriptorINS5_IJNS_5EmbedINS5_IJiiiEEESD_Lb0EEENS_11PassThroughIiEENS_3PadIiiiLb0EEESG_SG_NSC_INS5_IJiiEEESJ_Lb0EEESG_NS_23Merge_v2_magic_divisionISJ_EESM_NS_8RightPadIiiLb0EEESO_NS_7UnMergeISJ_Lb0EEESG_EEENS5_IJNS_8SequenceIJLi0EEEENSS_IJLi1EEEENSS_IJLi2EEEENSS_IJLi3EEEENSS_IJLi4EEEENSS_IJLi5EEEENSS_IJLi6EEEENSS_IJLi7ELi9EEEENSS_IJLi8ELi10EEEENSS_IJLi11EEEENSS_IJLi12EEEENSS_IJLi14EEEENSS_IJLi13EEEEEEENS5_IJNSS_IJLi1ELi2ELi3EEEESX_SY_SZ_NSS_IJLi7EEEENSS_IJLi8ELi9EEEENSS_IJLi10EEEES12_S13_S15_S14_NSS_IJLi15ELi16EEEENSS_IJLi17EEEEEEENSS_IJLi15ELi17ELi16EEEElEENSB_INS5_IJSQ_SO_SO_SQ_SG_EEENS5_IJST_SU_SV_SX_SW_EEENS5_IJNSS_IJLi1ELi2EEEESW_SX_NSS_IJLi5ELi6EEEES18_EEENSS_IJLi5ELi7ELi6EEEElEENSB_INS5_IJSK_SO_SO_EEENS5_IJST_SU_SV_EEENS5_IJS1I_SW_SX_EEENSS_IJLi3ELi4EEEElEELi128ELi128ELi16ELi2ELi4ELi4ELi1ENSS_IJLi8ELi2EEEES1S_NSS_IJLi8ELi1ELi1ELi2EEEENSS_IJLi2ELi1ELi128ELi1EEEENSS_IJLi1ELi2ELi0ELi3EEEES1V_NSS_IJLi4ELi1ELi1ELi2EEEES1V_NSS_IJLi1ELi1ELi1ELi2EEEES1T_S1U_S1V_S1V_S1W_S1V_S1X_NSS_IJLi0ELi1ELi2ELi3ELi4ELi5EEEELi5ELi4EEEDF16_NS5_IJPKDF16_EEEDF16_S8_S8_S9_NSB_INS5_IJSE_SG_SI_SG_SG_SK_SG_SM_SM_SO_SO_SQ_SG_SG_NSP_INS5_IJiNS_17integral_constantIiLi128EEEEEELb0EEENSF_INS23_IiLi2EEEEEEEENS5_IJST_SU_SV_SW_SX_SY_SZ_S10_S11_S12_S13_S14_S15_NSS_IJLi15EEEES1C_NSS_IJLi16EEEEEEENS5_IJS17_SX_SY_SZ_S18_S19_S1A_S12_S13_S15_S14_S1B_S1C_NSS_IJLi18EEEENSS_IJLi19ELi20EEEENSS_IJLi21EEEEEEENSS_IJLi18ELi19ELi20ELi21EEEElEENSB_INS5_IJSQ_SO_SO_SQ_SG_SG_S26_S28_EEENS5_IJST_SU_SV_SX_SW_SY_S18_SZ_EEENS5_IJS1I_SW_SX_S1J_S18_NSS_IJLi8EEEENSS_IJLi9ELi10EEEES12_EEENSS_IJLi8ELi9ELi10ELi11EEEElEENS5_IJNSB_INS5_IJSK_SO_SO_NSP_INS5_IJiS27_NS23_IiLi64EEEEEELb0EEES2S_EEENS5_IJST_SU_SV_SW_SX_EEENS5_IJS1I_SW_SX_NSS_IJLi5ELi6ELi7EEEENSS_IJLi8ELi9ELi10EEEEEEENSS_IJLi5ELi6ELi7ELi8ELi9ELi10EEEElEEEEES2Z_NS_31BlockToCTileMap_M00_N00_M01_N01ILi128ELi128ES1R_Lb0EEENS1_30ComputePtrOffsetOfStridedBatchILi1ELi1ELi1EvEELb0ELb1EEEvPKT0_S37_T1_PT2_T3_T4_T5_iT6_T7_T8_T9_T10_T11_, .Lfunc_end3-_ZN2ck16tensor_operation6device12_GLOBAL__N_137kernel_grouped_conv_fwd_dl_multiple_dINS_32GridwiseGemmDlMultipleD_km_kn_mnILi256EDF16_fNS_5TupleIJDF16_EEEDF16_NS0_12element_wise11PassThroughES8_NS7_7AddReluELNS_25InMemoryDataOperationEnumE0ENS_16TensorDescriptorINS5_IJNS_5EmbedINS5_IJiiiEEESD_Lb0EEENS_11PassThroughIiEENS_3PadIiiiLb0EEESG_SG_NSC_INS5_IJiiEEESJ_Lb0EEESG_NS_23Merge_v2_magic_divisionISJ_EESM_NS_8RightPadIiiLb0EEESO_NS_7UnMergeISJ_Lb0EEESG_EEENS5_IJNS_8SequenceIJLi0EEEENSS_IJLi1EEEENSS_IJLi2EEEENSS_IJLi3EEEENSS_IJLi4EEEENSS_IJLi5EEEENSS_IJLi6EEEENSS_IJLi7ELi9EEEENSS_IJLi8ELi10EEEENSS_IJLi11EEEENSS_IJLi12EEEENSS_IJLi14EEEENSS_IJLi13EEEEEEENS5_IJNSS_IJLi1ELi2ELi3EEEESX_SY_SZ_NSS_IJLi7EEEENSS_IJLi8ELi9EEEENSS_IJLi10EEEES12_S13_S15_S14_NSS_IJLi15ELi16EEEENSS_IJLi17EEEEEEENSS_IJLi15ELi17ELi16EEEElEENSB_INS5_IJSQ_SO_SO_SQ_SG_EEENS5_IJST_SU_SV_SX_SW_EEENS5_IJNSS_IJLi1ELi2EEEESW_SX_NSS_IJLi5ELi6EEEES18_EEENSS_IJLi5ELi7ELi6EEEElEENSB_INS5_IJSK_SO_SO_EEENS5_IJST_SU_SV_EEENS5_IJS1I_SW_SX_EEENSS_IJLi3ELi4EEEElEELi128ELi128ELi16ELi2ELi4ELi4ELi1ENSS_IJLi8ELi2EEEES1S_NSS_IJLi8ELi1ELi1ELi2EEEENSS_IJLi2ELi1ELi128ELi1EEEENSS_IJLi1ELi2ELi0ELi3EEEES1V_NSS_IJLi4ELi1ELi1ELi2EEEES1V_NSS_IJLi1ELi1ELi1ELi2EEEES1T_S1U_S1V_S1V_S1W_S1V_S1X_NSS_IJLi0ELi1ELi2ELi3ELi4ELi5EEEELi5ELi4EEEDF16_NS5_IJPKDF16_EEEDF16_S8_S8_S9_NSB_INS5_IJSE_SG_SI_SG_SG_SK_SG_SM_SM_SO_SO_SQ_SG_SG_NSP_INS5_IJiNS_17integral_constantIiLi128EEEEEELb0EEENSF_INS23_IiLi2EEEEEEEENS5_IJST_SU_SV_SW_SX_SY_SZ_S10_S11_S12_S13_S14_S15_NSS_IJLi15EEEES1C_NSS_IJLi16EEEEEEENS5_IJS17_SX_SY_SZ_S18_S19_S1A_S12_S13_S15_S14_S1B_S1C_NSS_IJLi18EEEENSS_IJLi19ELi20EEEENSS_IJLi21EEEEEEENSS_IJLi18ELi19ELi20ELi21EEEElEENSB_INS5_IJSQ_SO_SO_SQ_SG_SG_S26_S28_EEENS5_IJST_SU_SV_SX_SW_SY_S18_SZ_EEENS5_IJS1I_SW_SX_S1J_S18_NSS_IJLi8EEEENSS_IJLi9ELi10EEEES12_EEENSS_IJLi8ELi9ELi10ELi11EEEElEENS5_IJNSB_INS5_IJSK_SO_SO_NSP_INS5_IJiS27_NS23_IiLi64EEEEEELb0EEES2S_EEENS5_IJST_SU_SV_SW_SX_EEENS5_IJS1I_SW_SX_NSS_IJLi5ELi6ELi7EEEENSS_IJLi8ELi9ELi10EEEEEEENSS_IJLi5ELi6ELi7ELi8ELi9ELi10EEEElEEEEES2Z_NS_31BlockToCTileMap_M00_N00_M01_N01ILi128ELi128ES1R_Lb0EEENS1_30ComputePtrOffsetOfStridedBatchILi1ELi1ELi1EvEELb0ELb1EEEvPKT0_S37_T1_PT2_T3_T4_T5_iT6_T7_T8_T9_T10_T11_
                                        ; -- End function
	.set _ZN2ck16tensor_operation6device12_GLOBAL__N_137kernel_grouped_conv_fwd_dl_multiple_dINS_32GridwiseGemmDlMultipleD_km_kn_mnILi256EDF16_fNS_5TupleIJDF16_EEEDF16_NS0_12element_wise11PassThroughES8_NS7_7AddReluELNS_25InMemoryDataOperationEnumE0ENS_16TensorDescriptorINS5_IJNS_5EmbedINS5_IJiiiEEESD_Lb0EEENS_11PassThroughIiEENS_3PadIiiiLb0EEESG_SG_NSC_INS5_IJiiEEESJ_Lb0EEESG_NS_23Merge_v2_magic_divisionISJ_EESM_NS_8RightPadIiiLb0EEESO_NS_7UnMergeISJ_Lb0EEESG_EEENS5_IJNS_8SequenceIJLi0EEEENSS_IJLi1EEEENSS_IJLi2EEEENSS_IJLi3EEEENSS_IJLi4EEEENSS_IJLi5EEEENSS_IJLi6EEEENSS_IJLi7ELi9EEEENSS_IJLi8ELi10EEEENSS_IJLi11EEEENSS_IJLi12EEEENSS_IJLi14EEEENSS_IJLi13EEEEEEENS5_IJNSS_IJLi1ELi2ELi3EEEESX_SY_SZ_NSS_IJLi7EEEENSS_IJLi8ELi9EEEENSS_IJLi10EEEES12_S13_S15_S14_NSS_IJLi15ELi16EEEENSS_IJLi17EEEEEEENSS_IJLi15ELi17ELi16EEEElEENSB_INS5_IJSQ_SO_SO_SQ_SG_EEENS5_IJST_SU_SV_SX_SW_EEENS5_IJNSS_IJLi1ELi2EEEESW_SX_NSS_IJLi5ELi6EEEES18_EEENSS_IJLi5ELi7ELi6EEEElEENSB_INS5_IJSK_SO_SO_EEENS5_IJST_SU_SV_EEENS5_IJS1I_SW_SX_EEENSS_IJLi3ELi4EEEElEELi128ELi128ELi16ELi2ELi4ELi4ELi1ENSS_IJLi8ELi2EEEES1S_NSS_IJLi8ELi1ELi1ELi2EEEENSS_IJLi2ELi1ELi128ELi1EEEENSS_IJLi1ELi2ELi0ELi3EEEES1V_NSS_IJLi4ELi1ELi1ELi2EEEES1V_NSS_IJLi1ELi1ELi1ELi2EEEES1T_S1U_S1V_S1V_S1W_S1V_S1X_NSS_IJLi0ELi1ELi2ELi3ELi4ELi5EEEELi5ELi4EEEDF16_NS5_IJPKDF16_EEEDF16_S8_S8_S9_NSB_INS5_IJSE_SG_SI_SG_SG_SK_SG_SM_SM_SO_SO_SQ_SG_SG_NSP_INS5_IJiNS_17integral_constantIiLi128EEEEEELb0EEENSF_INS23_IiLi2EEEEEEEENS5_IJST_SU_SV_SW_SX_SY_SZ_S10_S11_S12_S13_S14_S15_NSS_IJLi15EEEES1C_NSS_IJLi16EEEEEEENS5_IJS17_SX_SY_SZ_S18_S19_S1A_S12_S13_S15_S14_S1B_S1C_NSS_IJLi18EEEENSS_IJLi19ELi20EEEENSS_IJLi21EEEEEEENSS_IJLi18ELi19ELi20ELi21EEEElEENSB_INS5_IJSQ_SO_SO_SQ_SG_SG_S26_S28_EEENS5_IJST_SU_SV_SX_SW_SY_S18_SZ_EEENS5_IJS1I_SW_SX_S1J_S18_NSS_IJLi8EEEENSS_IJLi9ELi10EEEES12_EEENSS_IJLi8ELi9ELi10ELi11EEEElEENS5_IJNSB_INS5_IJSK_SO_SO_NSP_INS5_IJiS27_NS23_IiLi64EEEEEELb0EEES2S_EEENS5_IJST_SU_SV_SW_SX_EEENS5_IJS1I_SW_SX_NSS_IJLi5ELi6ELi7EEEENSS_IJLi8ELi9ELi10EEEEEEENSS_IJLi5ELi6ELi7ELi8ELi9ELi10EEEElEEEEES2Z_NS_31BlockToCTileMap_M00_N00_M01_N01ILi128ELi128ES1R_Lb0EEENS1_30ComputePtrOffsetOfStridedBatchILi1ELi1ELi1EvEELb0ELb1EEEvPKT0_S37_T1_PT2_T3_T4_T5_iT6_T7_T8_T9_T10_T11_.num_vgpr, 101
	.set _ZN2ck16tensor_operation6device12_GLOBAL__N_137kernel_grouped_conv_fwd_dl_multiple_dINS_32GridwiseGemmDlMultipleD_km_kn_mnILi256EDF16_fNS_5TupleIJDF16_EEEDF16_NS0_12element_wise11PassThroughES8_NS7_7AddReluELNS_25InMemoryDataOperationEnumE0ENS_16TensorDescriptorINS5_IJNS_5EmbedINS5_IJiiiEEESD_Lb0EEENS_11PassThroughIiEENS_3PadIiiiLb0EEESG_SG_NSC_INS5_IJiiEEESJ_Lb0EEESG_NS_23Merge_v2_magic_divisionISJ_EESM_NS_8RightPadIiiLb0EEESO_NS_7UnMergeISJ_Lb0EEESG_EEENS5_IJNS_8SequenceIJLi0EEEENSS_IJLi1EEEENSS_IJLi2EEEENSS_IJLi3EEEENSS_IJLi4EEEENSS_IJLi5EEEENSS_IJLi6EEEENSS_IJLi7ELi9EEEENSS_IJLi8ELi10EEEENSS_IJLi11EEEENSS_IJLi12EEEENSS_IJLi14EEEENSS_IJLi13EEEEEEENS5_IJNSS_IJLi1ELi2ELi3EEEESX_SY_SZ_NSS_IJLi7EEEENSS_IJLi8ELi9EEEENSS_IJLi10EEEES12_S13_S15_S14_NSS_IJLi15ELi16EEEENSS_IJLi17EEEEEEENSS_IJLi15ELi17ELi16EEEElEENSB_INS5_IJSQ_SO_SO_SQ_SG_EEENS5_IJST_SU_SV_SX_SW_EEENS5_IJNSS_IJLi1ELi2EEEESW_SX_NSS_IJLi5ELi6EEEES18_EEENSS_IJLi5ELi7ELi6EEEElEENSB_INS5_IJSK_SO_SO_EEENS5_IJST_SU_SV_EEENS5_IJS1I_SW_SX_EEENSS_IJLi3ELi4EEEElEELi128ELi128ELi16ELi2ELi4ELi4ELi1ENSS_IJLi8ELi2EEEES1S_NSS_IJLi8ELi1ELi1ELi2EEEENSS_IJLi2ELi1ELi128ELi1EEEENSS_IJLi1ELi2ELi0ELi3EEEES1V_NSS_IJLi4ELi1ELi1ELi2EEEES1V_NSS_IJLi1ELi1ELi1ELi2EEEES1T_S1U_S1V_S1V_S1W_S1V_S1X_NSS_IJLi0ELi1ELi2ELi3ELi4ELi5EEEELi5ELi4EEEDF16_NS5_IJPKDF16_EEEDF16_S8_S8_S9_NSB_INS5_IJSE_SG_SI_SG_SG_SK_SG_SM_SM_SO_SO_SQ_SG_SG_NSP_INS5_IJiNS_17integral_constantIiLi128EEEEEELb0EEENSF_INS23_IiLi2EEEEEEEENS5_IJST_SU_SV_SW_SX_SY_SZ_S10_S11_S12_S13_S14_S15_NSS_IJLi15EEEES1C_NSS_IJLi16EEEEEEENS5_IJS17_SX_SY_SZ_S18_S19_S1A_S12_S13_S15_S14_S1B_S1C_NSS_IJLi18EEEENSS_IJLi19ELi20EEEENSS_IJLi21EEEEEEENSS_IJLi18ELi19ELi20ELi21EEEElEENSB_INS5_IJSQ_SO_SO_SQ_SG_SG_S26_S28_EEENS5_IJST_SU_SV_SX_SW_SY_S18_SZ_EEENS5_IJS1I_SW_SX_S1J_S18_NSS_IJLi8EEEENSS_IJLi9ELi10EEEES12_EEENSS_IJLi8ELi9ELi10ELi11EEEElEENS5_IJNSB_INS5_IJSK_SO_SO_NSP_INS5_IJiS27_NS23_IiLi64EEEEEELb0EEES2S_EEENS5_IJST_SU_SV_SW_SX_EEENS5_IJS1I_SW_SX_NSS_IJLi5ELi6ELi7EEEENSS_IJLi8ELi9ELi10EEEEEEENSS_IJLi5ELi6ELi7ELi8ELi9ELi10EEEElEEEEES2Z_NS_31BlockToCTileMap_M00_N00_M01_N01ILi128ELi128ES1R_Lb0EEENS1_30ComputePtrOffsetOfStridedBatchILi1ELi1ELi1EvEELb0ELb1EEEvPKT0_S37_T1_PT2_T3_T4_T5_iT6_T7_T8_T9_T10_T11_.num_agpr, 0
	.set _ZN2ck16tensor_operation6device12_GLOBAL__N_137kernel_grouped_conv_fwd_dl_multiple_dINS_32GridwiseGemmDlMultipleD_km_kn_mnILi256EDF16_fNS_5TupleIJDF16_EEEDF16_NS0_12element_wise11PassThroughES8_NS7_7AddReluELNS_25InMemoryDataOperationEnumE0ENS_16TensorDescriptorINS5_IJNS_5EmbedINS5_IJiiiEEESD_Lb0EEENS_11PassThroughIiEENS_3PadIiiiLb0EEESG_SG_NSC_INS5_IJiiEEESJ_Lb0EEESG_NS_23Merge_v2_magic_divisionISJ_EESM_NS_8RightPadIiiLb0EEESO_NS_7UnMergeISJ_Lb0EEESG_EEENS5_IJNS_8SequenceIJLi0EEEENSS_IJLi1EEEENSS_IJLi2EEEENSS_IJLi3EEEENSS_IJLi4EEEENSS_IJLi5EEEENSS_IJLi6EEEENSS_IJLi7ELi9EEEENSS_IJLi8ELi10EEEENSS_IJLi11EEEENSS_IJLi12EEEENSS_IJLi14EEEENSS_IJLi13EEEEEEENS5_IJNSS_IJLi1ELi2ELi3EEEESX_SY_SZ_NSS_IJLi7EEEENSS_IJLi8ELi9EEEENSS_IJLi10EEEES12_S13_S15_S14_NSS_IJLi15ELi16EEEENSS_IJLi17EEEEEEENSS_IJLi15ELi17ELi16EEEElEENSB_INS5_IJSQ_SO_SO_SQ_SG_EEENS5_IJST_SU_SV_SX_SW_EEENS5_IJNSS_IJLi1ELi2EEEESW_SX_NSS_IJLi5ELi6EEEES18_EEENSS_IJLi5ELi7ELi6EEEElEENSB_INS5_IJSK_SO_SO_EEENS5_IJST_SU_SV_EEENS5_IJS1I_SW_SX_EEENSS_IJLi3ELi4EEEElEELi128ELi128ELi16ELi2ELi4ELi4ELi1ENSS_IJLi8ELi2EEEES1S_NSS_IJLi8ELi1ELi1ELi2EEEENSS_IJLi2ELi1ELi128ELi1EEEENSS_IJLi1ELi2ELi0ELi3EEEES1V_NSS_IJLi4ELi1ELi1ELi2EEEES1V_NSS_IJLi1ELi1ELi1ELi2EEEES1T_S1U_S1V_S1V_S1W_S1V_S1X_NSS_IJLi0ELi1ELi2ELi3ELi4ELi5EEEELi5ELi4EEEDF16_NS5_IJPKDF16_EEEDF16_S8_S8_S9_NSB_INS5_IJSE_SG_SI_SG_SG_SK_SG_SM_SM_SO_SO_SQ_SG_SG_NSP_INS5_IJiNS_17integral_constantIiLi128EEEEEELb0EEENSF_INS23_IiLi2EEEEEEEENS5_IJST_SU_SV_SW_SX_SY_SZ_S10_S11_S12_S13_S14_S15_NSS_IJLi15EEEES1C_NSS_IJLi16EEEEEEENS5_IJS17_SX_SY_SZ_S18_S19_S1A_S12_S13_S15_S14_S1B_S1C_NSS_IJLi18EEEENSS_IJLi19ELi20EEEENSS_IJLi21EEEEEEENSS_IJLi18ELi19ELi20ELi21EEEElEENSB_INS5_IJSQ_SO_SO_SQ_SG_SG_S26_S28_EEENS5_IJST_SU_SV_SX_SW_SY_S18_SZ_EEENS5_IJS1I_SW_SX_S1J_S18_NSS_IJLi8EEEENSS_IJLi9ELi10EEEES12_EEENSS_IJLi8ELi9ELi10ELi11EEEElEENS5_IJNSB_INS5_IJSK_SO_SO_NSP_INS5_IJiS27_NS23_IiLi64EEEEEELb0EEES2S_EEENS5_IJST_SU_SV_SW_SX_EEENS5_IJS1I_SW_SX_NSS_IJLi5ELi6ELi7EEEENSS_IJLi8ELi9ELi10EEEEEEENSS_IJLi5ELi6ELi7ELi8ELi9ELi10EEEElEEEEES2Z_NS_31BlockToCTileMap_M00_N00_M01_N01ILi128ELi128ES1R_Lb0EEENS1_30ComputePtrOffsetOfStridedBatchILi1ELi1ELi1EvEELb0ELb1EEEvPKT0_S37_T1_PT2_T3_T4_T5_iT6_T7_T8_T9_T10_T11_.numbered_sgpr, 65
	.set _ZN2ck16tensor_operation6device12_GLOBAL__N_137kernel_grouped_conv_fwd_dl_multiple_dINS_32GridwiseGemmDlMultipleD_km_kn_mnILi256EDF16_fNS_5TupleIJDF16_EEEDF16_NS0_12element_wise11PassThroughES8_NS7_7AddReluELNS_25InMemoryDataOperationEnumE0ENS_16TensorDescriptorINS5_IJNS_5EmbedINS5_IJiiiEEESD_Lb0EEENS_11PassThroughIiEENS_3PadIiiiLb0EEESG_SG_NSC_INS5_IJiiEEESJ_Lb0EEESG_NS_23Merge_v2_magic_divisionISJ_EESM_NS_8RightPadIiiLb0EEESO_NS_7UnMergeISJ_Lb0EEESG_EEENS5_IJNS_8SequenceIJLi0EEEENSS_IJLi1EEEENSS_IJLi2EEEENSS_IJLi3EEEENSS_IJLi4EEEENSS_IJLi5EEEENSS_IJLi6EEEENSS_IJLi7ELi9EEEENSS_IJLi8ELi10EEEENSS_IJLi11EEEENSS_IJLi12EEEENSS_IJLi14EEEENSS_IJLi13EEEEEEENS5_IJNSS_IJLi1ELi2ELi3EEEESX_SY_SZ_NSS_IJLi7EEEENSS_IJLi8ELi9EEEENSS_IJLi10EEEES12_S13_S15_S14_NSS_IJLi15ELi16EEEENSS_IJLi17EEEEEEENSS_IJLi15ELi17ELi16EEEElEENSB_INS5_IJSQ_SO_SO_SQ_SG_EEENS5_IJST_SU_SV_SX_SW_EEENS5_IJNSS_IJLi1ELi2EEEESW_SX_NSS_IJLi5ELi6EEEES18_EEENSS_IJLi5ELi7ELi6EEEElEENSB_INS5_IJSK_SO_SO_EEENS5_IJST_SU_SV_EEENS5_IJS1I_SW_SX_EEENSS_IJLi3ELi4EEEElEELi128ELi128ELi16ELi2ELi4ELi4ELi1ENSS_IJLi8ELi2EEEES1S_NSS_IJLi8ELi1ELi1ELi2EEEENSS_IJLi2ELi1ELi128ELi1EEEENSS_IJLi1ELi2ELi0ELi3EEEES1V_NSS_IJLi4ELi1ELi1ELi2EEEES1V_NSS_IJLi1ELi1ELi1ELi2EEEES1T_S1U_S1V_S1V_S1W_S1V_S1X_NSS_IJLi0ELi1ELi2ELi3ELi4ELi5EEEELi5ELi4EEEDF16_NS5_IJPKDF16_EEEDF16_S8_S8_S9_NSB_INS5_IJSE_SG_SI_SG_SG_SK_SG_SM_SM_SO_SO_SQ_SG_SG_NSP_INS5_IJiNS_17integral_constantIiLi128EEEEEELb0EEENSF_INS23_IiLi2EEEEEEEENS5_IJST_SU_SV_SW_SX_SY_SZ_S10_S11_S12_S13_S14_S15_NSS_IJLi15EEEES1C_NSS_IJLi16EEEEEEENS5_IJS17_SX_SY_SZ_S18_S19_S1A_S12_S13_S15_S14_S1B_S1C_NSS_IJLi18EEEENSS_IJLi19ELi20EEEENSS_IJLi21EEEEEEENSS_IJLi18ELi19ELi20ELi21EEEElEENSB_INS5_IJSQ_SO_SO_SQ_SG_SG_S26_S28_EEENS5_IJST_SU_SV_SX_SW_SY_S18_SZ_EEENS5_IJS1I_SW_SX_S1J_S18_NSS_IJLi8EEEENSS_IJLi9ELi10EEEES12_EEENSS_IJLi8ELi9ELi10ELi11EEEElEENS5_IJNSB_INS5_IJSK_SO_SO_NSP_INS5_IJiS27_NS23_IiLi64EEEEEELb0EEES2S_EEENS5_IJST_SU_SV_SW_SX_EEENS5_IJS1I_SW_SX_NSS_IJLi5ELi6ELi7EEEENSS_IJLi8ELi9ELi10EEEEEEENSS_IJLi5ELi6ELi7ELi8ELi9ELi10EEEElEEEEES2Z_NS_31BlockToCTileMap_M00_N00_M01_N01ILi128ELi128ES1R_Lb0EEENS1_30ComputePtrOffsetOfStridedBatchILi1ELi1ELi1EvEELb0ELb1EEEvPKT0_S37_T1_PT2_T3_T4_T5_iT6_T7_T8_T9_T10_T11_.num_named_barrier, 0
	.set _ZN2ck16tensor_operation6device12_GLOBAL__N_137kernel_grouped_conv_fwd_dl_multiple_dINS_32GridwiseGemmDlMultipleD_km_kn_mnILi256EDF16_fNS_5TupleIJDF16_EEEDF16_NS0_12element_wise11PassThroughES8_NS7_7AddReluELNS_25InMemoryDataOperationEnumE0ENS_16TensorDescriptorINS5_IJNS_5EmbedINS5_IJiiiEEESD_Lb0EEENS_11PassThroughIiEENS_3PadIiiiLb0EEESG_SG_NSC_INS5_IJiiEEESJ_Lb0EEESG_NS_23Merge_v2_magic_divisionISJ_EESM_NS_8RightPadIiiLb0EEESO_NS_7UnMergeISJ_Lb0EEESG_EEENS5_IJNS_8SequenceIJLi0EEEENSS_IJLi1EEEENSS_IJLi2EEEENSS_IJLi3EEEENSS_IJLi4EEEENSS_IJLi5EEEENSS_IJLi6EEEENSS_IJLi7ELi9EEEENSS_IJLi8ELi10EEEENSS_IJLi11EEEENSS_IJLi12EEEENSS_IJLi14EEEENSS_IJLi13EEEEEEENS5_IJNSS_IJLi1ELi2ELi3EEEESX_SY_SZ_NSS_IJLi7EEEENSS_IJLi8ELi9EEEENSS_IJLi10EEEES12_S13_S15_S14_NSS_IJLi15ELi16EEEENSS_IJLi17EEEEEEENSS_IJLi15ELi17ELi16EEEElEENSB_INS5_IJSQ_SO_SO_SQ_SG_EEENS5_IJST_SU_SV_SX_SW_EEENS5_IJNSS_IJLi1ELi2EEEESW_SX_NSS_IJLi5ELi6EEEES18_EEENSS_IJLi5ELi7ELi6EEEElEENSB_INS5_IJSK_SO_SO_EEENS5_IJST_SU_SV_EEENS5_IJS1I_SW_SX_EEENSS_IJLi3ELi4EEEElEELi128ELi128ELi16ELi2ELi4ELi4ELi1ENSS_IJLi8ELi2EEEES1S_NSS_IJLi8ELi1ELi1ELi2EEEENSS_IJLi2ELi1ELi128ELi1EEEENSS_IJLi1ELi2ELi0ELi3EEEES1V_NSS_IJLi4ELi1ELi1ELi2EEEES1V_NSS_IJLi1ELi1ELi1ELi2EEEES1T_S1U_S1V_S1V_S1W_S1V_S1X_NSS_IJLi0ELi1ELi2ELi3ELi4ELi5EEEELi5ELi4EEEDF16_NS5_IJPKDF16_EEEDF16_S8_S8_S9_NSB_INS5_IJSE_SG_SI_SG_SG_SK_SG_SM_SM_SO_SO_SQ_SG_SG_NSP_INS5_IJiNS_17integral_constantIiLi128EEEEEELb0EEENSF_INS23_IiLi2EEEEEEEENS5_IJST_SU_SV_SW_SX_SY_SZ_S10_S11_S12_S13_S14_S15_NSS_IJLi15EEEES1C_NSS_IJLi16EEEEEEENS5_IJS17_SX_SY_SZ_S18_S19_S1A_S12_S13_S15_S14_S1B_S1C_NSS_IJLi18EEEENSS_IJLi19ELi20EEEENSS_IJLi21EEEEEEENSS_IJLi18ELi19ELi20ELi21EEEElEENSB_INS5_IJSQ_SO_SO_SQ_SG_SG_S26_S28_EEENS5_IJST_SU_SV_SX_SW_SY_S18_SZ_EEENS5_IJS1I_SW_SX_S1J_S18_NSS_IJLi8EEEENSS_IJLi9ELi10EEEES12_EEENSS_IJLi8ELi9ELi10ELi11EEEElEENS5_IJNSB_INS5_IJSK_SO_SO_NSP_INS5_IJiS27_NS23_IiLi64EEEEEELb0EEES2S_EEENS5_IJST_SU_SV_SW_SX_EEENS5_IJS1I_SW_SX_NSS_IJLi5ELi6ELi7EEEENSS_IJLi8ELi9ELi10EEEEEEENSS_IJLi5ELi6ELi7ELi8ELi9ELi10EEEElEEEEES2Z_NS_31BlockToCTileMap_M00_N00_M01_N01ILi128ELi128ES1R_Lb0EEENS1_30ComputePtrOffsetOfStridedBatchILi1ELi1ELi1EvEELb0ELb1EEEvPKT0_S37_T1_PT2_T3_T4_T5_iT6_T7_T8_T9_T10_T11_.private_seg_size, 0
	.set _ZN2ck16tensor_operation6device12_GLOBAL__N_137kernel_grouped_conv_fwd_dl_multiple_dINS_32GridwiseGemmDlMultipleD_km_kn_mnILi256EDF16_fNS_5TupleIJDF16_EEEDF16_NS0_12element_wise11PassThroughES8_NS7_7AddReluELNS_25InMemoryDataOperationEnumE0ENS_16TensorDescriptorINS5_IJNS_5EmbedINS5_IJiiiEEESD_Lb0EEENS_11PassThroughIiEENS_3PadIiiiLb0EEESG_SG_NSC_INS5_IJiiEEESJ_Lb0EEESG_NS_23Merge_v2_magic_divisionISJ_EESM_NS_8RightPadIiiLb0EEESO_NS_7UnMergeISJ_Lb0EEESG_EEENS5_IJNS_8SequenceIJLi0EEEENSS_IJLi1EEEENSS_IJLi2EEEENSS_IJLi3EEEENSS_IJLi4EEEENSS_IJLi5EEEENSS_IJLi6EEEENSS_IJLi7ELi9EEEENSS_IJLi8ELi10EEEENSS_IJLi11EEEENSS_IJLi12EEEENSS_IJLi14EEEENSS_IJLi13EEEEEEENS5_IJNSS_IJLi1ELi2ELi3EEEESX_SY_SZ_NSS_IJLi7EEEENSS_IJLi8ELi9EEEENSS_IJLi10EEEES12_S13_S15_S14_NSS_IJLi15ELi16EEEENSS_IJLi17EEEEEEENSS_IJLi15ELi17ELi16EEEElEENSB_INS5_IJSQ_SO_SO_SQ_SG_EEENS5_IJST_SU_SV_SX_SW_EEENS5_IJNSS_IJLi1ELi2EEEESW_SX_NSS_IJLi5ELi6EEEES18_EEENSS_IJLi5ELi7ELi6EEEElEENSB_INS5_IJSK_SO_SO_EEENS5_IJST_SU_SV_EEENS5_IJS1I_SW_SX_EEENSS_IJLi3ELi4EEEElEELi128ELi128ELi16ELi2ELi4ELi4ELi1ENSS_IJLi8ELi2EEEES1S_NSS_IJLi8ELi1ELi1ELi2EEEENSS_IJLi2ELi1ELi128ELi1EEEENSS_IJLi1ELi2ELi0ELi3EEEES1V_NSS_IJLi4ELi1ELi1ELi2EEEES1V_NSS_IJLi1ELi1ELi1ELi2EEEES1T_S1U_S1V_S1V_S1W_S1V_S1X_NSS_IJLi0ELi1ELi2ELi3ELi4ELi5EEEELi5ELi4EEEDF16_NS5_IJPKDF16_EEEDF16_S8_S8_S9_NSB_INS5_IJSE_SG_SI_SG_SG_SK_SG_SM_SM_SO_SO_SQ_SG_SG_NSP_INS5_IJiNS_17integral_constantIiLi128EEEEEELb0EEENSF_INS23_IiLi2EEEEEEEENS5_IJST_SU_SV_SW_SX_SY_SZ_S10_S11_S12_S13_S14_S15_NSS_IJLi15EEEES1C_NSS_IJLi16EEEEEEENS5_IJS17_SX_SY_SZ_S18_S19_S1A_S12_S13_S15_S14_S1B_S1C_NSS_IJLi18EEEENSS_IJLi19ELi20EEEENSS_IJLi21EEEEEEENSS_IJLi18ELi19ELi20ELi21EEEElEENSB_INS5_IJSQ_SO_SO_SQ_SG_SG_S26_S28_EEENS5_IJST_SU_SV_SX_SW_SY_S18_SZ_EEENS5_IJS1I_SW_SX_S1J_S18_NSS_IJLi8EEEENSS_IJLi9ELi10EEEES12_EEENSS_IJLi8ELi9ELi10ELi11EEEElEENS5_IJNSB_INS5_IJSK_SO_SO_NSP_INS5_IJiS27_NS23_IiLi64EEEEEELb0EEES2S_EEENS5_IJST_SU_SV_SW_SX_EEENS5_IJS1I_SW_SX_NSS_IJLi5ELi6ELi7EEEENSS_IJLi8ELi9ELi10EEEEEEENSS_IJLi5ELi6ELi7ELi8ELi9ELi10EEEElEEEEES2Z_NS_31BlockToCTileMap_M00_N00_M01_N01ILi128ELi128ES1R_Lb0EEENS1_30ComputePtrOffsetOfStridedBatchILi1ELi1ELi1EvEELb0ELb1EEEvPKT0_S37_T1_PT2_T3_T4_T5_iT6_T7_T8_T9_T10_T11_.uses_vcc, 1
	.set _ZN2ck16tensor_operation6device12_GLOBAL__N_137kernel_grouped_conv_fwd_dl_multiple_dINS_32GridwiseGemmDlMultipleD_km_kn_mnILi256EDF16_fNS_5TupleIJDF16_EEEDF16_NS0_12element_wise11PassThroughES8_NS7_7AddReluELNS_25InMemoryDataOperationEnumE0ENS_16TensorDescriptorINS5_IJNS_5EmbedINS5_IJiiiEEESD_Lb0EEENS_11PassThroughIiEENS_3PadIiiiLb0EEESG_SG_NSC_INS5_IJiiEEESJ_Lb0EEESG_NS_23Merge_v2_magic_divisionISJ_EESM_NS_8RightPadIiiLb0EEESO_NS_7UnMergeISJ_Lb0EEESG_EEENS5_IJNS_8SequenceIJLi0EEEENSS_IJLi1EEEENSS_IJLi2EEEENSS_IJLi3EEEENSS_IJLi4EEEENSS_IJLi5EEEENSS_IJLi6EEEENSS_IJLi7ELi9EEEENSS_IJLi8ELi10EEEENSS_IJLi11EEEENSS_IJLi12EEEENSS_IJLi14EEEENSS_IJLi13EEEEEEENS5_IJNSS_IJLi1ELi2ELi3EEEESX_SY_SZ_NSS_IJLi7EEEENSS_IJLi8ELi9EEEENSS_IJLi10EEEES12_S13_S15_S14_NSS_IJLi15ELi16EEEENSS_IJLi17EEEEEEENSS_IJLi15ELi17ELi16EEEElEENSB_INS5_IJSQ_SO_SO_SQ_SG_EEENS5_IJST_SU_SV_SX_SW_EEENS5_IJNSS_IJLi1ELi2EEEESW_SX_NSS_IJLi5ELi6EEEES18_EEENSS_IJLi5ELi7ELi6EEEElEENSB_INS5_IJSK_SO_SO_EEENS5_IJST_SU_SV_EEENS5_IJS1I_SW_SX_EEENSS_IJLi3ELi4EEEElEELi128ELi128ELi16ELi2ELi4ELi4ELi1ENSS_IJLi8ELi2EEEES1S_NSS_IJLi8ELi1ELi1ELi2EEEENSS_IJLi2ELi1ELi128ELi1EEEENSS_IJLi1ELi2ELi0ELi3EEEES1V_NSS_IJLi4ELi1ELi1ELi2EEEES1V_NSS_IJLi1ELi1ELi1ELi2EEEES1T_S1U_S1V_S1V_S1W_S1V_S1X_NSS_IJLi0ELi1ELi2ELi3ELi4ELi5EEEELi5ELi4EEEDF16_NS5_IJPKDF16_EEEDF16_S8_S8_S9_NSB_INS5_IJSE_SG_SI_SG_SG_SK_SG_SM_SM_SO_SO_SQ_SG_SG_NSP_INS5_IJiNS_17integral_constantIiLi128EEEEEELb0EEENSF_INS23_IiLi2EEEEEEEENS5_IJST_SU_SV_SW_SX_SY_SZ_S10_S11_S12_S13_S14_S15_NSS_IJLi15EEEES1C_NSS_IJLi16EEEEEEENS5_IJS17_SX_SY_SZ_S18_S19_S1A_S12_S13_S15_S14_S1B_S1C_NSS_IJLi18EEEENSS_IJLi19ELi20EEEENSS_IJLi21EEEEEEENSS_IJLi18ELi19ELi20ELi21EEEElEENSB_INS5_IJSQ_SO_SO_SQ_SG_SG_S26_S28_EEENS5_IJST_SU_SV_SX_SW_SY_S18_SZ_EEENS5_IJS1I_SW_SX_S1J_S18_NSS_IJLi8EEEENSS_IJLi9ELi10EEEES12_EEENSS_IJLi8ELi9ELi10ELi11EEEElEENS5_IJNSB_INS5_IJSK_SO_SO_NSP_INS5_IJiS27_NS23_IiLi64EEEEEELb0EEES2S_EEENS5_IJST_SU_SV_SW_SX_EEENS5_IJS1I_SW_SX_NSS_IJLi5ELi6ELi7EEEENSS_IJLi8ELi9ELi10EEEEEEENSS_IJLi5ELi6ELi7ELi8ELi9ELi10EEEElEEEEES2Z_NS_31BlockToCTileMap_M00_N00_M01_N01ILi128ELi128ES1R_Lb0EEENS1_30ComputePtrOffsetOfStridedBatchILi1ELi1ELi1EvEELb0ELb1EEEvPKT0_S37_T1_PT2_T3_T4_T5_iT6_T7_T8_T9_T10_T11_.uses_flat_scratch, 0
	.set _ZN2ck16tensor_operation6device12_GLOBAL__N_137kernel_grouped_conv_fwd_dl_multiple_dINS_32GridwiseGemmDlMultipleD_km_kn_mnILi256EDF16_fNS_5TupleIJDF16_EEEDF16_NS0_12element_wise11PassThroughES8_NS7_7AddReluELNS_25InMemoryDataOperationEnumE0ENS_16TensorDescriptorINS5_IJNS_5EmbedINS5_IJiiiEEESD_Lb0EEENS_11PassThroughIiEENS_3PadIiiiLb0EEESG_SG_NSC_INS5_IJiiEEESJ_Lb0EEESG_NS_23Merge_v2_magic_divisionISJ_EESM_NS_8RightPadIiiLb0EEESO_NS_7UnMergeISJ_Lb0EEESG_EEENS5_IJNS_8SequenceIJLi0EEEENSS_IJLi1EEEENSS_IJLi2EEEENSS_IJLi3EEEENSS_IJLi4EEEENSS_IJLi5EEEENSS_IJLi6EEEENSS_IJLi7ELi9EEEENSS_IJLi8ELi10EEEENSS_IJLi11EEEENSS_IJLi12EEEENSS_IJLi14EEEENSS_IJLi13EEEEEEENS5_IJNSS_IJLi1ELi2ELi3EEEESX_SY_SZ_NSS_IJLi7EEEENSS_IJLi8ELi9EEEENSS_IJLi10EEEES12_S13_S15_S14_NSS_IJLi15ELi16EEEENSS_IJLi17EEEEEEENSS_IJLi15ELi17ELi16EEEElEENSB_INS5_IJSQ_SO_SO_SQ_SG_EEENS5_IJST_SU_SV_SX_SW_EEENS5_IJNSS_IJLi1ELi2EEEESW_SX_NSS_IJLi5ELi6EEEES18_EEENSS_IJLi5ELi7ELi6EEEElEENSB_INS5_IJSK_SO_SO_EEENS5_IJST_SU_SV_EEENS5_IJS1I_SW_SX_EEENSS_IJLi3ELi4EEEElEELi128ELi128ELi16ELi2ELi4ELi4ELi1ENSS_IJLi8ELi2EEEES1S_NSS_IJLi8ELi1ELi1ELi2EEEENSS_IJLi2ELi1ELi128ELi1EEEENSS_IJLi1ELi2ELi0ELi3EEEES1V_NSS_IJLi4ELi1ELi1ELi2EEEES1V_NSS_IJLi1ELi1ELi1ELi2EEEES1T_S1U_S1V_S1V_S1W_S1V_S1X_NSS_IJLi0ELi1ELi2ELi3ELi4ELi5EEEELi5ELi4EEEDF16_NS5_IJPKDF16_EEEDF16_S8_S8_S9_NSB_INS5_IJSE_SG_SI_SG_SG_SK_SG_SM_SM_SO_SO_SQ_SG_SG_NSP_INS5_IJiNS_17integral_constantIiLi128EEEEEELb0EEENSF_INS23_IiLi2EEEEEEEENS5_IJST_SU_SV_SW_SX_SY_SZ_S10_S11_S12_S13_S14_S15_NSS_IJLi15EEEES1C_NSS_IJLi16EEEEEEENS5_IJS17_SX_SY_SZ_S18_S19_S1A_S12_S13_S15_S14_S1B_S1C_NSS_IJLi18EEEENSS_IJLi19ELi20EEEENSS_IJLi21EEEEEEENSS_IJLi18ELi19ELi20ELi21EEEElEENSB_INS5_IJSQ_SO_SO_SQ_SG_SG_S26_S28_EEENS5_IJST_SU_SV_SX_SW_SY_S18_SZ_EEENS5_IJS1I_SW_SX_S1J_S18_NSS_IJLi8EEEENSS_IJLi9ELi10EEEES12_EEENSS_IJLi8ELi9ELi10ELi11EEEElEENS5_IJNSB_INS5_IJSK_SO_SO_NSP_INS5_IJiS27_NS23_IiLi64EEEEEELb0EEES2S_EEENS5_IJST_SU_SV_SW_SX_EEENS5_IJS1I_SW_SX_NSS_IJLi5ELi6ELi7EEEENSS_IJLi8ELi9ELi10EEEEEEENSS_IJLi5ELi6ELi7ELi8ELi9ELi10EEEElEEEEES2Z_NS_31BlockToCTileMap_M00_N00_M01_N01ILi128ELi128ES1R_Lb0EEENS1_30ComputePtrOffsetOfStridedBatchILi1ELi1ELi1EvEELb0ELb1EEEvPKT0_S37_T1_PT2_T3_T4_T5_iT6_T7_T8_T9_T10_T11_.has_dyn_sized_stack, 0
	.set _ZN2ck16tensor_operation6device12_GLOBAL__N_137kernel_grouped_conv_fwd_dl_multiple_dINS_32GridwiseGemmDlMultipleD_km_kn_mnILi256EDF16_fNS_5TupleIJDF16_EEEDF16_NS0_12element_wise11PassThroughES8_NS7_7AddReluELNS_25InMemoryDataOperationEnumE0ENS_16TensorDescriptorINS5_IJNS_5EmbedINS5_IJiiiEEESD_Lb0EEENS_11PassThroughIiEENS_3PadIiiiLb0EEESG_SG_NSC_INS5_IJiiEEESJ_Lb0EEESG_NS_23Merge_v2_magic_divisionISJ_EESM_NS_8RightPadIiiLb0EEESO_NS_7UnMergeISJ_Lb0EEESG_EEENS5_IJNS_8SequenceIJLi0EEEENSS_IJLi1EEEENSS_IJLi2EEEENSS_IJLi3EEEENSS_IJLi4EEEENSS_IJLi5EEEENSS_IJLi6EEEENSS_IJLi7ELi9EEEENSS_IJLi8ELi10EEEENSS_IJLi11EEEENSS_IJLi12EEEENSS_IJLi14EEEENSS_IJLi13EEEEEEENS5_IJNSS_IJLi1ELi2ELi3EEEESX_SY_SZ_NSS_IJLi7EEEENSS_IJLi8ELi9EEEENSS_IJLi10EEEES12_S13_S15_S14_NSS_IJLi15ELi16EEEENSS_IJLi17EEEEEEENSS_IJLi15ELi17ELi16EEEElEENSB_INS5_IJSQ_SO_SO_SQ_SG_EEENS5_IJST_SU_SV_SX_SW_EEENS5_IJNSS_IJLi1ELi2EEEESW_SX_NSS_IJLi5ELi6EEEES18_EEENSS_IJLi5ELi7ELi6EEEElEENSB_INS5_IJSK_SO_SO_EEENS5_IJST_SU_SV_EEENS5_IJS1I_SW_SX_EEENSS_IJLi3ELi4EEEElEELi128ELi128ELi16ELi2ELi4ELi4ELi1ENSS_IJLi8ELi2EEEES1S_NSS_IJLi8ELi1ELi1ELi2EEEENSS_IJLi2ELi1ELi128ELi1EEEENSS_IJLi1ELi2ELi0ELi3EEEES1V_NSS_IJLi4ELi1ELi1ELi2EEEES1V_NSS_IJLi1ELi1ELi1ELi2EEEES1T_S1U_S1V_S1V_S1W_S1V_S1X_NSS_IJLi0ELi1ELi2ELi3ELi4ELi5EEEELi5ELi4EEEDF16_NS5_IJPKDF16_EEEDF16_S8_S8_S9_NSB_INS5_IJSE_SG_SI_SG_SG_SK_SG_SM_SM_SO_SO_SQ_SG_SG_NSP_INS5_IJiNS_17integral_constantIiLi128EEEEEELb0EEENSF_INS23_IiLi2EEEEEEEENS5_IJST_SU_SV_SW_SX_SY_SZ_S10_S11_S12_S13_S14_S15_NSS_IJLi15EEEES1C_NSS_IJLi16EEEEEEENS5_IJS17_SX_SY_SZ_S18_S19_S1A_S12_S13_S15_S14_S1B_S1C_NSS_IJLi18EEEENSS_IJLi19ELi20EEEENSS_IJLi21EEEEEEENSS_IJLi18ELi19ELi20ELi21EEEElEENSB_INS5_IJSQ_SO_SO_SQ_SG_SG_S26_S28_EEENS5_IJST_SU_SV_SX_SW_SY_S18_SZ_EEENS5_IJS1I_SW_SX_S1J_S18_NSS_IJLi8EEEENSS_IJLi9ELi10EEEES12_EEENSS_IJLi8ELi9ELi10ELi11EEEElEENS5_IJNSB_INS5_IJSK_SO_SO_NSP_INS5_IJiS27_NS23_IiLi64EEEEEELb0EEES2S_EEENS5_IJST_SU_SV_SW_SX_EEENS5_IJS1I_SW_SX_NSS_IJLi5ELi6ELi7EEEENSS_IJLi8ELi9ELi10EEEEEEENSS_IJLi5ELi6ELi7ELi8ELi9ELi10EEEElEEEEES2Z_NS_31BlockToCTileMap_M00_N00_M01_N01ILi128ELi128ES1R_Lb0EEENS1_30ComputePtrOffsetOfStridedBatchILi1ELi1ELi1EvEELb0ELb1EEEvPKT0_S37_T1_PT2_T3_T4_T5_iT6_T7_T8_T9_T10_T11_.has_recursion, 0
	.set _ZN2ck16tensor_operation6device12_GLOBAL__N_137kernel_grouped_conv_fwd_dl_multiple_dINS_32GridwiseGemmDlMultipleD_km_kn_mnILi256EDF16_fNS_5TupleIJDF16_EEEDF16_NS0_12element_wise11PassThroughES8_NS7_7AddReluELNS_25InMemoryDataOperationEnumE0ENS_16TensorDescriptorINS5_IJNS_5EmbedINS5_IJiiiEEESD_Lb0EEENS_11PassThroughIiEENS_3PadIiiiLb0EEESG_SG_NSC_INS5_IJiiEEESJ_Lb0EEESG_NS_23Merge_v2_magic_divisionISJ_EESM_NS_8RightPadIiiLb0EEESO_NS_7UnMergeISJ_Lb0EEESG_EEENS5_IJNS_8SequenceIJLi0EEEENSS_IJLi1EEEENSS_IJLi2EEEENSS_IJLi3EEEENSS_IJLi4EEEENSS_IJLi5EEEENSS_IJLi6EEEENSS_IJLi7ELi9EEEENSS_IJLi8ELi10EEEENSS_IJLi11EEEENSS_IJLi12EEEENSS_IJLi14EEEENSS_IJLi13EEEEEEENS5_IJNSS_IJLi1ELi2ELi3EEEESX_SY_SZ_NSS_IJLi7EEEENSS_IJLi8ELi9EEEENSS_IJLi10EEEES12_S13_S15_S14_NSS_IJLi15ELi16EEEENSS_IJLi17EEEEEEENSS_IJLi15ELi17ELi16EEEElEENSB_INS5_IJSQ_SO_SO_SQ_SG_EEENS5_IJST_SU_SV_SX_SW_EEENS5_IJNSS_IJLi1ELi2EEEESW_SX_NSS_IJLi5ELi6EEEES18_EEENSS_IJLi5ELi7ELi6EEEElEENSB_INS5_IJSK_SO_SO_EEENS5_IJST_SU_SV_EEENS5_IJS1I_SW_SX_EEENSS_IJLi3ELi4EEEElEELi128ELi128ELi16ELi2ELi4ELi4ELi1ENSS_IJLi8ELi2EEEES1S_NSS_IJLi8ELi1ELi1ELi2EEEENSS_IJLi2ELi1ELi128ELi1EEEENSS_IJLi1ELi2ELi0ELi3EEEES1V_NSS_IJLi4ELi1ELi1ELi2EEEES1V_NSS_IJLi1ELi1ELi1ELi2EEEES1T_S1U_S1V_S1V_S1W_S1V_S1X_NSS_IJLi0ELi1ELi2ELi3ELi4ELi5EEEELi5ELi4EEEDF16_NS5_IJPKDF16_EEEDF16_S8_S8_S9_NSB_INS5_IJSE_SG_SI_SG_SG_SK_SG_SM_SM_SO_SO_SQ_SG_SG_NSP_INS5_IJiNS_17integral_constantIiLi128EEEEEELb0EEENSF_INS23_IiLi2EEEEEEEENS5_IJST_SU_SV_SW_SX_SY_SZ_S10_S11_S12_S13_S14_S15_NSS_IJLi15EEEES1C_NSS_IJLi16EEEEEEENS5_IJS17_SX_SY_SZ_S18_S19_S1A_S12_S13_S15_S14_S1B_S1C_NSS_IJLi18EEEENSS_IJLi19ELi20EEEENSS_IJLi21EEEEEEENSS_IJLi18ELi19ELi20ELi21EEEElEENSB_INS5_IJSQ_SO_SO_SQ_SG_SG_S26_S28_EEENS5_IJST_SU_SV_SX_SW_SY_S18_SZ_EEENS5_IJS1I_SW_SX_S1J_S18_NSS_IJLi8EEEENSS_IJLi9ELi10EEEES12_EEENSS_IJLi8ELi9ELi10ELi11EEEElEENS5_IJNSB_INS5_IJSK_SO_SO_NSP_INS5_IJiS27_NS23_IiLi64EEEEEELb0EEES2S_EEENS5_IJST_SU_SV_SW_SX_EEENS5_IJS1I_SW_SX_NSS_IJLi5ELi6ELi7EEEENSS_IJLi8ELi9ELi10EEEEEEENSS_IJLi5ELi6ELi7ELi8ELi9ELi10EEEElEEEEES2Z_NS_31BlockToCTileMap_M00_N00_M01_N01ILi128ELi128ES1R_Lb0EEENS1_30ComputePtrOffsetOfStridedBatchILi1ELi1ELi1EvEELb0ELb1EEEvPKT0_S37_T1_PT2_T3_T4_T5_iT6_T7_T8_T9_T10_T11_.has_indirect_call, 0
	.section	.AMDGPU.csdata,"",@progbits
; Kernel info:
; codeLenInByte = 14392
; TotalNumSgprs: 71
; NumVgprs: 101
; NumAgprs: 0
; TotalNumVgprs: 101
; ScratchSize: 0
; MemoryBound: 0
; FloatMode: 240
; IeeeMode: 1
; LDSByteSize: 32768 bytes/workgroup (compile time only)
; SGPRBlocks: 12
; VGPRBlocks: 12
; NumSGPRsForWavesPerEU: 102
; NumVGPRsForWavesPerEU: 101
; AccumOffset: 104
; Occupancy: 4
; WaveLimiterHint : 0
; COMPUTE_PGM_RSRC2:SCRATCH_EN: 0
; COMPUTE_PGM_RSRC2:USER_SGPR: 2
; COMPUTE_PGM_RSRC2:TRAP_HANDLER: 0
; COMPUTE_PGM_RSRC2:TGID_X_EN: 1
; COMPUTE_PGM_RSRC2:TGID_Y_EN: 0
; COMPUTE_PGM_RSRC2:TGID_Z_EN: 0
; COMPUTE_PGM_RSRC2:TIDIG_COMP_CNT: 0
; COMPUTE_PGM_RSRC3_GFX90A:ACCUM_OFFSET: 25
; COMPUTE_PGM_RSRC3_GFX90A:TG_SPLIT: 0
	.section	.text._ZN2ck16tensor_operation6device12_GLOBAL__N_137kernel_grouped_conv_fwd_dl_multiple_dINS_32GridwiseGemmDlMultipleD_km_kn_mnILi256EDF16_fNS_5TupleIJDF16_EEEDF16_NS0_12element_wise11PassThroughES8_NS7_7AddReluELNS_25InMemoryDataOperationEnumE0ENS_16TensorDescriptorINS5_IJNS_5EmbedINS5_IJiiiEEESD_Lb0EEENS_11PassThroughIiEENS_3PadIiiiLb0EEESG_SG_NSC_INS5_IJiiEEESJ_Lb0EEESG_NS_23Merge_v2_magic_divisionISJ_EESM_NS_8RightPadIiiLb0EEESO_NS_7UnMergeISJ_Lb0EEESG_EEENS5_IJNS_8SequenceIJLi0EEEENSS_IJLi1EEEENSS_IJLi2EEEENSS_IJLi3EEEENSS_IJLi4EEEENSS_IJLi5EEEENSS_IJLi6EEEENSS_IJLi7ELi9EEEENSS_IJLi8ELi10EEEENSS_IJLi11EEEENSS_IJLi12EEEENSS_IJLi14EEEENSS_IJLi13EEEEEEENS5_IJNSS_IJLi1ELi2ELi3EEEESX_SY_SZ_NSS_IJLi7EEEENSS_IJLi8ELi9EEEENSS_IJLi10EEEES12_S13_S15_S14_NSS_IJLi15ELi16EEEENSS_IJLi17EEEEEEENSS_IJLi15ELi17ELi16EEEElEENSB_INS5_IJSQ_SO_SO_SQ_SG_EEENS5_IJST_SU_SV_SX_SW_EEENS5_IJNSS_IJLi1ELi2EEEESW_SX_NSS_IJLi5ELi6EEEES18_EEENSS_IJLi5ELi7ELi6EEEElEENSB_INS5_IJSK_SO_SO_EEENS5_IJST_SU_SV_EEENS5_IJS1I_SW_SX_EEENSS_IJLi3ELi4EEEElEELi128ELi128ELi16ELi2ELi4ELi4ELi1ENSS_IJLi8ELi2EEEES1S_NSS_IJLi8ELi1ELi1ELi2EEEENSS_IJLi2ELi1ELi128ELi1EEEENSS_IJLi1ELi2ELi0ELi3EEEES1V_NSS_IJLi4ELi1ELi1ELi2EEEES1V_NSS_IJLi1ELi1ELi1ELi2EEEES1T_S1U_S1V_S1V_S1W_S1V_S1X_NSS_IJLi0ELi1ELi2ELi3ELi4ELi5EEEELi5ELi4EEEDF16_NS5_IJPKDF16_EEEDF16_S8_S8_S9_NSB_INS5_IJSE_SG_SI_SG_SG_SK_SG_SM_SM_SO_SO_SQ_SG_SG_NSP_INS5_IJiNS_17integral_constantIiLi128EEEEEELb0EEENSF_INS23_IiLi2EEEEEEEENS5_IJST_SU_SV_SW_SX_SY_SZ_S10_S11_S12_S13_S14_S15_NSS_IJLi15EEEES1C_NSS_IJLi16EEEEEEENS5_IJS17_SX_SY_SZ_S18_S19_S1A_S12_S13_S15_S14_S1B_S1C_NSS_IJLi18EEEENSS_IJLi19ELi20EEEENSS_IJLi21EEEEEEENSS_IJLi18ELi19ELi20ELi21EEEElEENSB_INS5_IJSQ_SO_SO_SQ_SG_SG_S26_S28_EEENS5_IJST_SU_SV_SX_SW_SY_S18_SZ_EEENS5_IJS1I_SW_SX_S1J_S18_NSS_IJLi8EEEENSS_IJLi9ELi10EEEES12_EEENSS_IJLi8ELi9ELi10ELi11EEEElEENS5_IJNSB_INS5_IJSK_SO_SO_NSP_INS5_IJiS27_NS23_IiLi64EEEEEELb0EEES2S_EEENS5_IJST_SU_SV_SW_SX_EEENS5_IJS1I_SW_SX_NSS_IJLi5ELi6ELi7EEEENSS_IJLi8ELi9ELi10EEEEEEENSS_IJLi5ELi6ELi7ELi8ELi9ELi10EEEElEEEEES2Z_NS_31BlockToCTileMap_M00_N00_M01_N01ILi128ELi128ES1R_Lb0EEENS1_30ComputePtrOffsetOfStridedBatchILi1ELi1ELi1EvEELb0ELb0EEEvPKT0_S37_T1_PT2_T3_T4_T5_iT6_T7_T8_T9_T10_T11_,"axG",@progbits,_ZN2ck16tensor_operation6device12_GLOBAL__N_137kernel_grouped_conv_fwd_dl_multiple_dINS_32GridwiseGemmDlMultipleD_km_kn_mnILi256EDF16_fNS_5TupleIJDF16_EEEDF16_NS0_12element_wise11PassThroughES8_NS7_7AddReluELNS_25InMemoryDataOperationEnumE0ENS_16TensorDescriptorINS5_IJNS_5EmbedINS5_IJiiiEEESD_Lb0EEENS_11PassThroughIiEENS_3PadIiiiLb0EEESG_SG_NSC_INS5_IJiiEEESJ_Lb0EEESG_NS_23Merge_v2_magic_divisionISJ_EESM_NS_8RightPadIiiLb0EEESO_NS_7UnMergeISJ_Lb0EEESG_EEENS5_IJNS_8SequenceIJLi0EEEENSS_IJLi1EEEENSS_IJLi2EEEENSS_IJLi3EEEENSS_IJLi4EEEENSS_IJLi5EEEENSS_IJLi6EEEENSS_IJLi7ELi9EEEENSS_IJLi8ELi10EEEENSS_IJLi11EEEENSS_IJLi12EEEENSS_IJLi14EEEENSS_IJLi13EEEEEEENS5_IJNSS_IJLi1ELi2ELi3EEEESX_SY_SZ_NSS_IJLi7EEEENSS_IJLi8ELi9EEEENSS_IJLi10EEEES12_S13_S15_S14_NSS_IJLi15ELi16EEEENSS_IJLi17EEEEEEENSS_IJLi15ELi17ELi16EEEElEENSB_INS5_IJSQ_SO_SO_SQ_SG_EEENS5_IJST_SU_SV_SX_SW_EEENS5_IJNSS_IJLi1ELi2EEEESW_SX_NSS_IJLi5ELi6EEEES18_EEENSS_IJLi5ELi7ELi6EEEElEENSB_INS5_IJSK_SO_SO_EEENS5_IJST_SU_SV_EEENS5_IJS1I_SW_SX_EEENSS_IJLi3ELi4EEEElEELi128ELi128ELi16ELi2ELi4ELi4ELi1ENSS_IJLi8ELi2EEEES1S_NSS_IJLi8ELi1ELi1ELi2EEEENSS_IJLi2ELi1ELi128ELi1EEEENSS_IJLi1ELi2ELi0ELi3EEEES1V_NSS_IJLi4ELi1ELi1ELi2EEEES1V_NSS_IJLi1ELi1ELi1ELi2EEEES1T_S1U_S1V_S1V_S1W_S1V_S1X_NSS_IJLi0ELi1ELi2ELi3ELi4ELi5EEEELi5ELi4EEEDF16_NS5_IJPKDF16_EEEDF16_S8_S8_S9_NSB_INS5_IJSE_SG_SI_SG_SG_SK_SG_SM_SM_SO_SO_SQ_SG_SG_NSP_INS5_IJiNS_17integral_constantIiLi128EEEEEELb0EEENSF_INS23_IiLi2EEEEEEEENS5_IJST_SU_SV_SW_SX_SY_SZ_S10_S11_S12_S13_S14_S15_NSS_IJLi15EEEES1C_NSS_IJLi16EEEEEEENS5_IJS17_SX_SY_SZ_S18_S19_S1A_S12_S13_S15_S14_S1B_S1C_NSS_IJLi18EEEENSS_IJLi19ELi20EEEENSS_IJLi21EEEEEEENSS_IJLi18ELi19ELi20ELi21EEEElEENSB_INS5_IJSQ_SO_SO_SQ_SG_SG_S26_S28_EEENS5_IJST_SU_SV_SX_SW_SY_S18_SZ_EEENS5_IJS1I_SW_SX_S1J_S18_NSS_IJLi8EEEENSS_IJLi9ELi10EEEES12_EEENSS_IJLi8ELi9ELi10ELi11EEEElEENS5_IJNSB_INS5_IJSK_SO_SO_NSP_INS5_IJiS27_NS23_IiLi64EEEEEELb0EEES2S_EEENS5_IJST_SU_SV_SW_SX_EEENS5_IJS1I_SW_SX_NSS_IJLi5ELi6ELi7EEEENSS_IJLi8ELi9ELi10EEEEEEENSS_IJLi5ELi6ELi7ELi8ELi9ELi10EEEElEEEEES2Z_NS_31BlockToCTileMap_M00_N00_M01_N01ILi128ELi128ES1R_Lb0EEENS1_30ComputePtrOffsetOfStridedBatchILi1ELi1ELi1EvEELb0ELb0EEEvPKT0_S37_T1_PT2_T3_T4_T5_iT6_T7_T8_T9_T10_T11_,comdat
	.globl	_ZN2ck16tensor_operation6device12_GLOBAL__N_137kernel_grouped_conv_fwd_dl_multiple_dINS_32GridwiseGemmDlMultipleD_km_kn_mnILi256EDF16_fNS_5TupleIJDF16_EEEDF16_NS0_12element_wise11PassThroughES8_NS7_7AddReluELNS_25InMemoryDataOperationEnumE0ENS_16TensorDescriptorINS5_IJNS_5EmbedINS5_IJiiiEEESD_Lb0EEENS_11PassThroughIiEENS_3PadIiiiLb0EEESG_SG_NSC_INS5_IJiiEEESJ_Lb0EEESG_NS_23Merge_v2_magic_divisionISJ_EESM_NS_8RightPadIiiLb0EEESO_NS_7UnMergeISJ_Lb0EEESG_EEENS5_IJNS_8SequenceIJLi0EEEENSS_IJLi1EEEENSS_IJLi2EEEENSS_IJLi3EEEENSS_IJLi4EEEENSS_IJLi5EEEENSS_IJLi6EEEENSS_IJLi7ELi9EEEENSS_IJLi8ELi10EEEENSS_IJLi11EEEENSS_IJLi12EEEENSS_IJLi14EEEENSS_IJLi13EEEEEEENS5_IJNSS_IJLi1ELi2ELi3EEEESX_SY_SZ_NSS_IJLi7EEEENSS_IJLi8ELi9EEEENSS_IJLi10EEEES12_S13_S15_S14_NSS_IJLi15ELi16EEEENSS_IJLi17EEEEEEENSS_IJLi15ELi17ELi16EEEElEENSB_INS5_IJSQ_SO_SO_SQ_SG_EEENS5_IJST_SU_SV_SX_SW_EEENS5_IJNSS_IJLi1ELi2EEEESW_SX_NSS_IJLi5ELi6EEEES18_EEENSS_IJLi5ELi7ELi6EEEElEENSB_INS5_IJSK_SO_SO_EEENS5_IJST_SU_SV_EEENS5_IJS1I_SW_SX_EEENSS_IJLi3ELi4EEEElEELi128ELi128ELi16ELi2ELi4ELi4ELi1ENSS_IJLi8ELi2EEEES1S_NSS_IJLi8ELi1ELi1ELi2EEEENSS_IJLi2ELi1ELi128ELi1EEEENSS_IJLi1ELi2ELi0ELi3EEEES1V_NSS_IJLi4ELi1ELi1ELi2EEEES1V_NSS_IJLi1ELi1ELi1ELi2EEEES1T_S1U_S1V_S1V_S1W_S1V_S1X_NSS_IJLi0ELi1ELi2ELi3ELi4ELi5EEEELi5ELi4EEEDF16_NS5_IJPKDF16_EEEDF16_S8_S8_S9_NSB_INS5_IJSE_SG_SI_SG_SG_SK_SG_SM_SM_SO_SO_SQ_SG_SG_NSP_INS5_IJiNS_17integral_constantIiLi128EEEEEELb0EEENSF_INS23_IiLi2EEEEEEEENS5_IJST_SU_SV_SW_SX_SY_SZ_S10_S11_S12_S13_S14_S15_NSS_IJLi15EEEES1C_NSS_IJLi16EEEEEEENS5_IJS17_SX_SY_SZ_S18_S19_S1A_S12_S13_S15_S14_S1B_S1C_NSS_IJLi18EEEENSS_IJLi19ELi20EEEENSS_IJLi21EEEEEEENSS_IJLi18ELi19ELi20ELi21EEEElEENSB_INS5_IJSQ_SO_SO_SQ_SG_SG_S26_S28_EEENS5_IJST_SU_SV_SX_SW_SY_S18_SZ_EEENS5_IJS1I_SW_SX_S1J_S18_NSS_IJLi8EEEENSS_IJLi9ELi10EEEES12_EEENSS_IJLi8ELi9ELi10ELi11EEEElEENS5_IJNSB_INS5_IJSK_SO_SO_NSP_INS5_IJiS27_NS23_IiLi64EEEEEELb0EEES2S_EEENS5_IJST_SU_SV_SW_SX_EEENS5_IJS1I_SW_SX_NSS_IJLi5ELi6ELi7EEEENSS_IJLi8ELi9ELi10EEEEEEENSS_IJLi5ELi6ELi7ELi8ELi9ELi10EEEElEEEEES2Z_NS_31BlockToCTileMap_M00_N00_M01_N01ILi128ELi128ES1R_Lb0EEENS1_30ComputePtrOffsetOfStridedBatchILi1ELi1ELi1EvEELb0ELb0EEEvPKT0_S37_T1_PT2_T3_T4_T5_iT6_T7_T8_T9_T10_T11_ ; -- Begin function _ZN2ck16tensor_operation6device12_GLOBAL__N_137kernel_grouped_conv_fwd_dl_multiple_dINS_32GridwiseGemmDlMultipleD_km_kn_mnILi256EDF16_fNS_5TupleIJDF16_EEEDF16_NS0_12element_wise11PassThroughES8_NS7_7AddReluELNS_25InMemoryDataOperationEnumE0ENS_16TensorDescriptorINS5_IJNS_5EmbedINS5_IJiiiEEESD_Lb0EEENS_11PassThroughIiEENS_3PadIiiiLb0EEESG_SG_NSC_INS5_IJiiEEESJ_Lb0EEESG_NS_23Merge_v2_magic_divisionISJ_EESM_NS_8RightPadIiiLb0EEESO_NS_7UnMergeISJ_Lb0EEESG_EEENS5_IJNS_8SequenceIJLi0EEEENSS_IJLi1EEEENSS_IJLi2EEEENSS_IJLi3EEEENSS_IJLi4EEEENSS_IJLi5EEEENSS_IJLi6EEEENSS_IJLi7ELi9EEEENSS_IJLi8ELi10EEEENSS_IJLi11EEEENSS_IJLi12EEEENSS_IJLi14EEEENSS_IJLi13EEEEEEENS5_IJNSS_IJLi1ELi2ELi3EEEESX_SY_SZ_NSS_IJLi7EEEENSS_IJLi8ELi9EEEENSS_IJLi10EEEES12_S13_S15_S14_NSS_IJLi15ELi16EEEENSS_IJLi17EEEEEEENSS_IJLi15ELi17ELi16EEEElEENSB_INS5_IJSQ_SO_SO_SQ_SG_EEENS5_IJST_SU_SV_SX_SW_EEENS5_IJNSS_IJLi1ELi2EEEESW_SX_NSS_IJLi5ELi6EEEES18_EEENSS_IJLi5ELi7ELi6EEEElEENSB_INS5_IJSK_SO_SO_EEENS5_IJST_SU_SV_EEENS5_IJS1I_SW_SX_EEENSS_IJLi3ELi4EEEElEELi128ELi128ELi16ELi2ELi4ELi4ELi1ENSS_IJLi8ELi2EEEES1S_NSS_IJLi8ELi1ELi1ELi2EEEENSS_IJLi2ELi1ELi128ELi1EEEENSS_IJLi1ELi2ELi0ELi3EEEES1V_NSS_IJLi4ELi1ELi1ELi2EEEES1V_NSS_IJLi1ELi1ELi1ELi2EEEES1T_S1U_S1V_S1V_S1W_S1V_S1X_NSS_IJLi0ELi1ELi2ELi3ELi4ELi5EEEELi5ELi4EEEDF16_NS5_IJPKDF16_EEEDF16_S8_S8_S9_NSB_INS5_IJSE_SG_SI_SG_SG_SK_SG_SM_SM_SO_SO_SQ_SG_SG_NSP_INS5_IJiNS_17integral_constantIiLi128EEEEEELb0EEENSF_INS23_IiLi2EEEEEEEENS5_IJST_SU_SV_SW_SX_SY_SZ_S10_S11_S12_S13_S14_S15_NSS_IJLi15EEEES1C_NSS_IJLi16EEEEEEENS5_IJS17_SX_SY_SZ_S18_S19_S1A_S12_S13_S15_S14_S1B_S1C_NSS_IJLi18EEEENSS_IJLi19ELi20EEEENSS_IJLi21EEEEEEENSS_IJLi18ELi19ELi20ELi21EEEElEENSB_INS5_IJSQ_SO_SO_SQ_SG_SG_S26_S28_EEENS5_IJST_SU_SV_SX_SW_SY_S18_SZ_EEENS5_IJS1I_SW_SX_S1J_S18_NSS_IJLi8EEEENSS_IJLi9ELi10EEEES12_EEENSS_IJLi8ELi9ELi10ELi11EEEElEENS5_IJNSB_INS5_IJSK_SO_SO_NSP_INS5_IJiS27_NS23_IiLi64EEEEEELb0EEES2S_EEENS5_IJST_SU_SV_SW_SX_EEENS5_IJS1I_SW_SX_NSS_IJLi5ELi6ELi7EEEENSS_IJLi8ELi9ELi10EEEEEEENSS_IJLi5ELi6ELi7ELi8ELi9ELi10EEEElEEEEES2Z_NS_31BlockToCTileMap_M00_N00_M01_N01ILi128ELi128ES1R_Lb0EEENS1_30ComputePtrOffsetOfStridedBatchILi1ELi1ELi1EvEELb0ELb0EEEvPKT0_S37_T1_PT2_T3_T4_T5_iT6_T7_T8_T9_T10_T11_
	.p2align	8
	.type	_ZN2ck16tensor_operation6device12_GLOBAL__N_137kernel_grouped_conv_fwd_dl_multiple_dINS_32GridwiseGemmDlMultipleD_km_kn_mnILi256EDF16_fNS_5TupleIJDF16_EEEDF16_NS0_12element_wise11PassThroughES8_NS7_7AddReluELNS_25InMemoryDataOperationEnumE0ENS_16TensorDescriptorINS5_IJNS_5EmbedINS5_IJiiiEEESD_Lb0EEENS_11PassThroughIiEENS_3PadIiiiLb0EEESG_SG_NSC_INS5_IJiiEEESJ_Lb0EEESG_NS_23Merge_v2_magic_divisionISJ_EESM_NS_8RightPadIiiLb0EEESO_NS_7UnMergeISJ_Lb0EEESG_EEENS5_IJNS_8SequenceIJLi0EEEENSS_IJLi1EEEENSS_IJLi2EEEENSS_IJLi3EEEENSS_IJLi4EEEENSS_IJLi5EEEENSS_IJLi6EEEENSS_IJLi7ELi9EEEENSS_IJLi8ELi10EEEENSS_IJLi11EEEENSS_IJLi12EEEENSS_IJLi14EEEENSS_IJLi13EEEEEEENS5_IJNSS_IJLi1ELi2ELi3EEEESX_SY_SZ_NSS_IJLi7EEEENSS_IJLi8ELi9EEEENSS_IJLi10EEEES12_S13_S15_S14_NSS_IJLi15ELi16EEEENSS_IJLi17EEEEEEENSS_IJLi15ELi17ELi16EEEElEENSB_INS5_IJSQ_SO_SO_SQ_SG_EEENS5_IJST_SU_SV_SX_SW_EEENS5_IJNSS_IJLi1ELi2EEEESW_SX_NSS_IJLi5ELi6EEEES18_EEENSS_IJLi5ELi7ELi6EEEElEENSB_INS5_IJSK_SO_SO_EEENS5_IJST_SU_SV_EEENS5_IJS1I_SW_SX_EEENSS_IJLi3ELi4EEEElEELi128ELi128ELi16ELi2ELi4ELi4ELi1ENSS_IJLi8ELi2EEEES1S_NSS_IJLi8ELi1ELi1ELi2EEEENSS_IJLi2ELi1ELi128ELi1EEEENSS_IJLi1ELi2ELi0ELi3EEEES1V_NSS_IJLi4ELi1ELi1ELi2EEEES1V_NSS_IJLi1ELi1ELi1ELi2EEEES1T_S1U_S1V_S1V_S1W_S1V_S1X_NSS_IJLi0ELi1ELi2ELi3ELi4ELi5EEEELi5ELi4EEEDF16_NS5_IJPKDF16_EEEDF16_S8_S8_S9_NSB_INS5_IJSE_SG_SI_SG_SG_SK_SG_SM_SM_SO_SO_SQ_SG_SG_NSP_INS5_IJiNS_17integral_constantIiLi128EEEEEELb0EEENSF_INS23_IiLi2EEEEEEEENS5_IJST_SU_SV_SW_SX_SY_SZ_S10_S11_S12_S13_S14_S15_NSS_IJLi15EEEES1C_NSS_IJLi16EEEEEEENS5_IJS17_SX_SY_SZ_S18_S19_S1A_S12_S13_S15_S14_S1B_S1C_NSS_IJLi18EEEENSS_IJLi19ELi20EEEENSS_IJLi21EEEEEEENSS_IJLi18ELi19ELi20ELi21EEEElEENSB_INS5_IJSQ_SO_SO_SQ_SG_SG_S26_S28_EEENS5_IJST_SU_SV_SX_SW_SY_S18_SZ_EEENS5_IJS1I_SW_SX_S1J_S18_NSS_IJLi8EEEENSS_IJLi9ELi10EEEES12_EEENSS_IJLi8ELi9ELi10ELi11EEEElEENS5_IJNSB_INS5_IJSK_SO_SO_NSP_INS5_IJiS27_NS23_IiLi64EEEEEELb0EEES2S_EEENS5_IJST_SU_SV_SW_SX_EEENS5_IJS1I_SW_SX_NSS_IJLi5ELi6ELi7EEEENSS_IJLi8ELi9ELi10EEEEEEENSS_IJLi5ELi6ELi7ELi8ELi9ELi10EEEElEEEEES2Z_NS_31BlockToCTileMap_M00_N00_M01_N01ILi128ELi128ES1R_Lb0EEENS1_30ComputePtrOffsetOfStridedBatchILi1ELi1ELi1EvEELb0ELb0EEEvPKT0_S37_T1_PT2_T3_T4_T5_iT6_T7_T8_T9_T10_T11_,@function
_ZN2ck16tensor_operation6device12_GLOBAL__N_137kernel_grouped_conv_fwd_dl_multiple_dINS_32GridwiseGemmDlMultipleD_km_kn_mnILi256EDF16_fNS_5TupleIJDF16_EEEDF16_NS0_12element_wise11PassThroughES8_NS7_7AddReluELNS_25InMemoryDataOperationEnumE0ENS_16TensorDescriptorINS5_IJNS_5EmbedINS5_IJiiiEEESD_Lb0EEENS_11PassThroughIiEENS_3PadIiiiLb0EEESG_SG_NSC_INS5_IJiiEEESJ_Lb0EEESG_NS_23Merge_v2_magic_divisionISJ_EESM_NS_8RightPadIiiLb0EEESO_NS_7UnMergeISJ_Lb0EEESG_EEENS5_IJNS_8SequenceIJLi0EEEENSS_IJLi1EEEENSS_IJLi2EEEENSS_IJLi3EEEENSS_IJLi4EEEENSS_IJLi5EEEENSS_IJLi6EEEENSS_IJLi7ELi9EEEENSS_IJLi8ELi10EEEENSS_IJLi11EEEENSS_IJLi12EEEENSS_IJLi14EEEENSS_IJLi13EEEEEEENS5_IJNSS_IJLi1ELi2ELi3EEEESX_SY_SZ_NSS_IJLi7EEEENSS_IJLi8ELi9EEEENSS_IJLi10EEEES12_S13_S15_S14_NSS_IJLi15ELi16EEEENSS_IJLi17EEEEEEENSS_IJLi15ELi17ELi16EEEElEENSB_INS5_IJSQ_SO_SO_SQ_SG_EEENS5_IJST_SU_SV_SX_SW_EEENS5_IJNSS_IJLi1ELi2EEEESW_SX_NSS_IJLi5ELi6EEEES18_EEENSS_IJLi5ELi7ELi6EEEElEENSB_INS5_IJSK_SO_SO_EEENS5_IJST_SU_SV_EEENS5_IJS1I_SW_SX_EEENSS_IJLi3ELi4EEEElEELi128ELi128ELi16ELi2ELi4ELi4ELi1ENSS_IJLi8ELi2EEEES1S_NSS_IJLi8ELi1ELi1ELi2EEEENSS_IJLi2ELi1ELi128ELi1EEEENSS_IJLi1ELi2ELi0ELi3EEEES1V_NSS_IJLi4ELi1ELi1ELi2EEEES1V_NSS_IJLi1ELi1ELi1ELi2EEEES1T_S1U_S1V_S1V_S1W_S1V_S1X_NSS_IJLi0ELi1ELi2ELi3ELi4ELi5EEEELi5ELi4EEEDF16_NS5_IJPKDF16_EEEDF16_S8_S8_S9_NSB_INS5_IJSE_SG_SI_SG_SG_SK_SG_SM_SM_SO_SO_SQ_SG_SG_NSP_INS5_IJiNS_17integral_constantIiLi128EEEEEELb0EEENSF_INS23_IiLi2EEEEEEEENS5_IJST_SU_SV_SW_SX_SY_SZ_S10_S11_S12_S13_S14_S15_NSS_IJLi15EEEES1C_NSS_IJLi16EEEEEEENS5_IJS17_SX_SY_SZ_S18_S19_S1A_S12_S13_S15_S14_S1B_S1C_NSS_IJLi18EEEENSS_IJLi19ELi20EEEENSS_IJLi21EEEEEEENSS_IJLi18ELi19ELi20ELi21EEEElEENSB_INS5_IJSQ_SO_SO_SQ_SG_SG_S26_S28_EEENS5_IJST_SU_SV_SX_SW_SY_S18_SZ_EEENS5_IJS1I_SW_SX_S1J_S18_NSS_IJLi8EEEENSS_IJLi9ELi10EEEES12_EEENSS_IJLi8ELi9ELi10ELi11EEEElEENS5_IJNSB_INS5_IJSK_SO_SO_NSP_INS5_IJiS27_NS23_IiLi64EEEEEELb0EEES2S_EEENS5_IJST_SU_SV_SW_SX_EEENS5_IJS1I_SW_SX_NSS_IJLi5ELi6ELi7EEEENSS_IJLi8ELi9ELi10EEEEEEENSS_IJLi5ELi6ELi7ELi8ELi9ELi10EEEElEEEEES2Z_NS_31BlockToCTileMap_M00_N00_M01_N01ILi128ELi128ES1R_Lb0EEENS1_30ComputePtrOffsetOfStridedBatchILi1ELi1ELi1EvEELb0ELb0EEEvPKT0_S37_T1_PT2_T3_T4_T5_iT6_T7_T8_T9_T10_T11_: ; @_ZN2ck16tensor_operation6device12_GLOBAL__N_137kernel_grouped_conv_fwd_dl_multiple_dINS_32GridwiseGemmDlMultipleD_km_kn_mnILi256EDF16_fNS_5TupleIJDF16_EEEDF16_NS0_12element_wise11PassThroughES8_NS7_7AddReluELNS_25InMemoryDataOperationEnumE0ENS_16TensorDescriptorINS5_IJNS_5EmbedINS5_IJiiiEEESD_Lb0EEENS_11PassThroughIiEENS_3PadIiiiLb0EEESG_SG_NSC_INS5_IJiiEEESJ_Lb0EEESG_NS_23Merge_v2_magic_divisionISJ_EESM_NS_8RightPadIiiLb0EEESO_NS_7UnMergeISJ_Lb0EEESG_EEENS5_IJNS_8SequenceIJLi0EEEENSS_IJLi1EEEENSS_IJLi2EEEENSS_IJLi3EEEENSS_IJLi4EEEENSS_IJLi5EEEENSS_IJLi6EEEENSS_IJLi7ELi9EEEENSS_IJLi8ELi10EEEENSS_IJLi11EEEENSS_IJLi12EEEENSS_IJLi14EEEENSS_IJLi13EEEEEEENS5_IJNSS_IJLi1ELi2ELi3EEEESX_SY_SZ_NSS_IJLi7EEEENSS_IJLi8ELi9EEEENSS_IJLi10EEEES12_S13_S15_S14_NSS_IJLi15ELi16EEEENSS_IJLi17EEEEEEENSS_IJLi15ELi17ELi16EEEElEENSB_INS5_IJSQ_SO_SO_SQ_SG_EEENS5_IJST_SU_SV_SX_SW_EEENS5_IJNSS_IJLi1ELi2EEEESW_SX_NSS_IJLi5ELi6EEEES18_EEENSS_IJLi5ELi7ELi6EEEElEENSB_INS5_IJSK_SO_SO_EEENS5_IJST_SU_SV_EEENS5_IJS1I_SW_SX_EEENSS_IJLi3ELi4EEEElEELi128ELi128ELi16ELi2ELi4ELi4ELi1ENSS_IJLi8ELi2EEEES1S_NSS_IJLi8ELi1ELi1ELi2EEEENSS_IJLi2ELi1ELi128ELi1EEEENSS_IJLi1ELi2ELi0ELi3EEEES1V_NSS_IJLi4ELi1ELi1ELi2EEEES1V_NSS_IJLi1ELi1ELi1ELi2EEEES1T_S1U_S1V_S1V_S1W_S1V_S1X_NSS_IJLi0ELi1ELi2ELi3ELi4ELi5EEEELi5ELi4EEEDF16_NS5_IJPKDF16_EEEDF16_S8_S8_S9_NSB_INS5_IJSE_SG_SI_SG_SG_SK_SG_SM_SM_SO_SO_SQ_SG_SG_NSP_INS5_IJiNS_17integral_constantIiLi128EEEEEELb0EEENSF_INS23_IiLi2EEEEEEEENS5_IJST_SU_SV_SW_SX_SY_SZ_S10_S11_S12_S13_S14_S15_NSS_IJLi15EEEES1C_NSS_IJLi16EEEEEEENS5_IJS17_SX_SY_SZ_S18_S19_S1A_S12_S13_S15_S14_S1B_S1C_NSS_IJLi18EEEENSS_IJLi19ELi20EEEENSS_IJLi21EEEEEEENSS_IJLi18ELi19ELi20ELi21EEEElEENSB_INS5_IJSQ_SO_SO_SQ_SG_SG_S26_S28_EEENS5_IJST_SU_SV_SX_SW_SY_S18_SZ_EEENS5_IJS1I_SW_SX_S1J_S18_NSS_IJLi8EEEENSS_IJLi9ELi10EEEES12_EEENSS_IJLi8ELi9ELi10ELi11EEEElEENS5_IJNSB_INS5_IJSK_SO_SO_NSP_INS5_IJiS27_NS23_IiLi64EEEEEELb0EEES2S_EEENS5_IJST_SU_SV_SW_SX_EEENS5_IJS1I_SW_SX_NSS_IJLi5ELi6ELi7EEEENSS_IJLi8ELi9ELi10EEEEEEENSS_IJLi5ELi6ELi7ELi8ELi9ELi10EEEElEEEEES2Z_NS_31BlockToCTileMap_M00_N00_M01_N01ILi128ELi128ES1R_Lb0EEENS1_30ComputePtrOffsetOfStridedBatchILi1ELi1ELi1EvEELb0ELb0EEEvPKT0_S37_T1_PT2_T3_T4_T5_iT6_T7_T8_T9_T10_T11_
; %bb.0:
	s_load_dwordx8 s[12:19], s[0:1], 0x0
	s_load_dword s20, s[0:1], 0x24
	s_load_dwordx8 s[4:11], s[0:1], 0x34
	s_load_dword s51, s[0:1], 0x48
	s_load_dwordx2 s[48:49], s[0:1], 0x60
	s_load_dword s58, s[0:1], 0x70
	s_load_dword s59, s[0:1], 0x78
	;; [unrolled: 1-line block ×6, first 2 shown]
	s_waitcnt lgkmcnt(0)
	s_abs_i32 s9, s20
	v_cvt_f32_u32_e32 v1, s9
	s_load_dword s61, s[0:1], 0xc4
	s_load_dword s62, s[0:1], 0xe8
	;; [unrolled: 1-line block ×7, first 2 shown]
	s_sub_i32 s22, 0, s9
	s_load_dword s56, s[0:1], 0x148
	s_load_dwordx2 s[34:35], s[0:1], 0x158
	s_load_dword s33, s[0:1], 0x164
	s_load_dword s50, s[0:1], 0x170
	;; [unrolled: 1-line block ×3, first 2 shown]
	v_rcp_iflag_f32_e32 v1, v1
	v_lshlrev_b32_e32 v2, 3, v0
	s_waitcnt lgkmcnt(0)
	s_xor_b32 s20, s21, s20
	s_abs_i32 s21, s21
	v_mul_f32_e32 v1, 0x4f7ffffe, v1
	v_cvt_u32_f32_e32 v1, v1
	s_ashr_i32 s20, s20, 31
	v_and_b32_e32 v21, 8, v2
	v_mul_lo_u32 v23, s61, v21
	v_readfirstlane_b32 s23, v1
	s_mul_i32 s22, s22, s23
	s_mul_hi_u32 s22, s23, s22
	s_add_i32 s23, s23, s22
	s_mul_hi_u32 s22, s21, s23
	s_mul_i32 s23, s22, s9
	s_sub_i32 s21, s21, s23
	s_add_i32 s23, s22, 1
	s_sub_i32 s24, s21, s9
	s_cmp_ge_u32 s21, s9
	s_cselect_b32 s22, s23, s22
	s_cselect_b32 s21, s24, s21
	s_add_i32 s23, s22, 1
	s_cmp_ge_u32 s21, s9
	s_cselect_b32 s9, s23, s22
	s_xor_b32 s9, s9, s20
	s_sub_i32 s9, s9, s20
	s_abs_i32 s28, s9
	v_cvt_f32_u32_e32 v1, s28
	s_load_dword s63, s[0:1], 0x204
	s_load_dword s64, s[0:1], 0x214
	s_load_dwordx8 s[20:27], s[0:1], 0x224
	s_waitcnt lgkmcnt(0)
	s_sub_i32 s23, 0, s28
	s_abs_i32 s21, s2
	v_rcp_iflag_f32_e32 v1, v1
	s_xor_b32 s9, s2, s9
	s_ashr_i32 s9, s9, 31
	s_load_dwordx4 s[44:47], s[0:1], 0x248
	s_load_dwordx8 s[36:43], s[0:1], 0x260
	v_mul_f32_e32 v1, 0x4f7ffffe, v1
	v_cvt_u32_f32_e32 v1, v1
	v_mul_hi_u32 v2, v23, s55
	v_add_u32_e32 v2, v23, v2
	v_lshrrev_b32_e32 v8, s54, v2
	v_readfirstlane_b32 s29, v1
	s_mul_i32 s23, s23, s29
	s_mul_hi_u32 s23, s29, s23
	s_add_i32 s29, s29, s23
	s_mul_hi_u32 s23, s21, s29
	s_mul_i32 s29, s23, s28
	s_sub_i32 s21, s21, s29
	s_add_i32 s29, s23, 1
	s_sub_i32 s30, s21, s28
	s_cmp_ge_u32 s21, s28
	s_cselect_b32 s23, s29, s23
	s_cselect_b32 s21, s30, s21
	s_add_i32 s29, s23, 1
	s_cmp_ge_u32 s21, s28
	s_cselect_b32 s21, s29, s23
	s_xor_b32 s21, s21, s9
	s_sub_i32 s9, s21, s9
	s_ashr_i32 s21, s9, 31
	s_waitcnt lgkmcnt(0)
	s_mul_i32 s23, s36, s21
	s_mul_hi_u32 s28, s36, s9
	s_add_i32 s23, s28, s23
	s_mul_i32 s28, s37, s9
	s_add_i32 s29, s23, s28
	s_mul_i32 s23, s38, s21
	s_mul_hi_u32 s30, s38, s9
	s_add_i32 s23, s30, s23
	s_mul_i32 s30, s39, s9
	s_mul_i32 s28, s36, s9
	s_add_i32 s31, s23, s30
	s_mul_i32 s23, s42, s21
	s_mul_hi_u32 s36, s42, s9
	s_add_i32 s23, s36, s23
	s_mul_i32 s36, s43, s9
	s_add_i32 s39, s23, s36
	s_mul_i32 s21, s40, s21
	s_mul_hi_u32 s23, s40, s9
	s_add_i32 s21, s23, s21
	s_mul_i32 s23, s41, s9
	s_add_i32 s37, s21, s23
	s_mul_i32 s36, s40, s9
	s_lshl_b64 s[36:37], s[36:37], 1
	s_add_u32 s16, s16, s36
	s_addc_u32 s17, s17, s37
	s_lshl_b64 s[28:29], s[28:29], 1
	s_mul_i32 s30, s38, s9
	s_add_u32 s28, s12, s28
	s_addc_u32 s21, s13, s29
	s_lshl_b64 s[12:13], s[30:31], 1
	s_mul_i32 s38, s42, s9
	s_add_u32 s36, s14, s12
	s_addc_u32 s23, s15, s13
	s_lshl_b64 s[12:13], s[38:39], 1
	s_add_u32 s12, s18, s12
	s_addc_u32 s9, s19, s13
	s_mul_hi_u32 s13, s27, s2
	s_add_i32 s13, s2, s13
	s_lshr_b32 s13, s13, s47
	s_mul_hi_u32 s14, s13, s26
	s_add_i32 s14, s13, s14
	s_lshr_b32 s14, s14, s46
	s_mul_hi_u32 s15, s14, s25
	s_load_dwordx4 s[40:43], s[0:1], 0x220
	s_add_i32 s15, s14, s15
	s_lshr_b32 s15, s15, s45
	s_mul_i32 s19, s13, s22
	s_sub_i32 s2, s2, s19
	s_mul_hi_u32 s19, s15, s24
	s_add_i32 s19, s15, s19
	s_lshr_b32 s19, s19, s44
	s_mul_i32 s18, s15, s20
	s_waitcnt lgkmcnt(0)
	s_mul_i32 s19, s19, s40
	s_sub_i32 s18, s14, s18
	s_mul_i32 s14, s14, s42
	s_sub_i32 s15, s15, s19
	s_sub_i32 s13, s13, s14
	s_mul_i32 s15, s15, s63
	s_add_i32 s13, s13, s15
	v_lshrrev_b32_e32 v1, 1, v0
	s_lshl_b32 s13, s13, 7
	v_or_b32_e32 v22, s13, v1
	v_mul_lo_u32 v2, v8, s3
	v_sub_u32_e32 v6, v23, v2
	v_mul_hi_u32 v2, v22, s59
	v_add_u32_e32 v3, v22, v2
	v_lshrrev_b32_e32 v3, s60, v3
	v_mul_lo_u32 v4, v3, s58
	v_mul_lo_u32 v2, v8, s48
	v_sub_u32_e32 v4, v22, v4
	v_mad_u64_u32 v[18:19], s[14:15], v4, s49, v[2:3]
	v_lshl_add_u32 v24, s61, 2, v23
	v_subrev_u32_e32 v2, s51, v18
	v_mul_hi_u32 v7, v24, s55
	s_mul_i32 s18, s18, s64
	v_mul_lo_u32 v3, v3, s4
	v_mul_lo_u32 v2, v2, s5
	;; [unrolled: 1-line block ×3, first 2 shown]
	v_add_u32_e32 v7, v24, v7
	s_add_i32 s2, s2, s18
	v_add3_u32 v9, v3, v4, v2
	v_lshrrev_b32_e32 v10, s54, v7
	s_lshl_b32 s14, s2, 7
	s_lshl_b32 s30, s62, 1
	s_and_b32 s29, s21, 0xffff
	s_mov_b32 s31, 0x20000
	v_lshlrev_b32_e32 v2, 1, v9
	v_mad_u64_u32 v[6:7], s[2:3], v10, s3, v[6:7]
	buffer_load_dwordx4 v[2:5], v2, s[28:31], 0 offen
	v_sub_u32_e32 v7, v24, v6
	v_sub_u32_e32 v6, v10, v8
	v_mul_lo_u32 v25, v6, s48
	v_mul_lo_u32 v6, v25, s5
	v_mad_u64_u32 v[6:7], s[2:3], v7, s6, v[6:7]
	v_or_b32_e32 v19, s14, v1
	v_mul_lo_u32 v20, s7, v21
	v_add_lshl_u32 v6, v6, v9, 1
	buffer_load_dwordx4 v[6:9], v6, s[28:31], 0 offen
	v_mad_u64_u32 v[14:15], s[2:3], v19, s57, v[20:21]
	s_lshl_b32 s38, s56, 1
	s_and_b32 s37, s23, 0xffff
	s_mov_b32 s39, s31
	v_lshlrev_b32_e32 v10, 1, v14
	buffer_load_dwordx4 v[10:13], v10, s[36:39], 0 offen
	s_lshl_b32 s15, s7, 2
	v_add_lshl_u32 v14, v14, s15, 1
	buffer_load_dwordx4 v[14:17], v14, s[36:39], 0 offen
	s_load_dword s2, s[0:1], 0xa8
	s_load_dword s18, s[0:1], 0xb4
	s_sub_i32 s8, s8, s10
	v_lshrrev_b32_e32 v26, 5, v0
	v_lshlrev_b32_e32 v28, 1, v0
	v_cmp_gt_i32_e64 s[6:7], s8, v18
	s_waitcnt lgkmcnt(0)
	v_cmp_gt_i32_e32 vcc, s18, v23
	v_lshlrev_b32_e32 v27, 6, v26
	v_and_b32_e32 v29, 0x1f8, v28
	v_cmp_le_i32_e64 s[4:5], s51, v18
	s_and_b64 s[6:7], s[6:7], vcc
	v_sub_u32_e32 v27, v29, v27
	v_lshlrev_b32_e32 v0, 2, v0
	v_cmp_gt_i32_e64 s[2:3], s2, v22
	s_and_b64 s[4:5], s[6:7], s[4:5]
	v_and_or_b32 v64, v0, 4, v27
	v_lshlrev_b32_e32 v0, 3, v26
	s_and_b64 vcc, s[2:3], s[4:5]
	v_and_or_b32 v65, v28, 4, v0
	v_lshlrev_b32_e32 v1, 2, v1
	v_lshl_or_b32 v1, v21, 9, v1
	v_lshlrev_b32_e32 v66, 2, v65
	v_lshlrev_b32_e32 v67, 2, v64
	v_mov_b32_e32 v62, 0
	v_mov_b32_e32 v63, 0
	;; [unrolled: 1-line block ×37, first 2 shown]
	s_waitcnt vmcnt(3)
	v_cndmask_b32_e32 v0, 0, v5, vcc
	v_add_u32_e32 v5, v18, v25
	v_cndmask_b32_e32 v4, 0, v4, vcc
	v_cndmask_b32_e32 v3, 0, v3, vcc
	v_cndmask_b32_e32 v2, 0, v2, vcc
	v_cmp_gt_i32_e32 vcc, s18, v24
	v_cmp_gt_i32_e64 s[6:7], s8, v5
	v_cmp_le_i32_e64 s[4:5], s51, v5
	s_and_b64 s[6:7], s[6:7], vcc
	s_and_b64 s[4:5], s[6:7], s[4:5]
	s_and_b64 vcc, s[2:3], s[4:5]
	s_waitcnt vmcnt(2)
	v_cndmask_b32_e32 v5, 0, v9, vcc
	v_cndmask_b32_e32 v8, 0, v8, vcc
	;; [unrolled: 1-line block ×4, first 2 shown]
	v_cmp_gt_i32_e32 vcc, s52, v20
	v_cmp_gt_i32_e64 s[2:3], s53, v19
	s_and_b64 vcc, vcc, s[2:3]
	s_waitcnt vmcnt(1)
	v_cndmask_b32_e32 v9, 0, v13, vcc
	v_add_u32_e32 v13, s15, v20
	v_cndmask_b32_e32 v12, 0, v12, vcc
	v_cndmask_b32_e32 v11, 0, v11, vcc
	;; [unrolled: 1-line block ×3, first 2 shown]
	v_cmp_gt_i32_e32 vcc, s52, v13
	s_and_b64 vcc, vcc, s[2:3]
	v_mov_b32_e32 v20, 0
	s_waitcnt vmcnt(0)
	v_cndmask_b32_e32 v13, 0, v17, vcc
	v_cndmask_b32_e32 v16, 0, v16, vcc
	;; [unrolled: 1-line block ×4, first 2 shown]
	ds_write2st64_b32 v1, v2, v3 offset1:2
	ds_write2st64_b32 v1, v4, v0 offset0:4 offset1:6
	ds_write2st64_b32 v1, v6, v7 offset0:8 offset1:10
	;; [unrolled: 1-line block ×7, first 2 shown]
	s_waitcnt lgkmcnt(0)
	s_barrier
	ds_read_b128 v[0:3], v66
	ds_read_b128 v[4:7], v67 offset:16384
	ds_read_b128 v[68:71], v67 offset:16640
	;; [unrolled: 1-line block ×3, first 2 shown]
	v_mov_b32_e32 v14, 0
	v_mov_b32_e32 v15, 0
	v_mov_b32_e32 v10, 0
	s_waitcnt lgkmcnt(2)
	v_dot2c_f32_f16_e32 v62, v0, v4
	v_dot2c_f32_f16_e32 v63, v0, v5
	;; [unrolled: 1-line block ×16, first 2 shown]
	s_waitcnt lgkmcnt(1)
	v_dot2c_f32_f16_e32 v58, v0, v68
	v_dot2c_f32_f16_e32 v59, v0, v69
	;; [unrolled: 1-line block ×16, first 2 shown]
	v_mov_b32_e32 v2, 0
	v_mov_b32_e32 v3, 0
	;; [unrolled: 1-line block ×8, first 2 shown]
	s_waitcnt lgkmcnt(0)
	v_dot2c_f32_f16_e32 v2, v72, v4
	v_dot2c_f32_f16_e32 v3, v72, v5
	;; [unrolled: 1-line block ×16, first 2 shown]
	v_mov_b32_e32 v6, 0
	v_mov_b32_e32 v7, 0
	;; [unrolled: 1-line block ×15, first 2 shown]
	ds_read_b128 v[76:79], v66 offset:512
	ds_read_b128 v[80:83], v67 offset:16896
	v_dot2c_f32_f16_e32 v6, v72, v68
	v_dot2c_f32_f16_e32 v7, v72, v69
	;; [unrolled: 1-line block ×16, first 2 shown]
	ds_read_b128 v[68:71], v67 offset:17152
	ds_read_b128 v[72:75], v66 offset:768
	s_waitcnt lgkmcnt(2)
	v_dot2c_f32_f16_e32 v62, v76, v80
	v_dot2c_f32_f16_e32 v63, v76, v81
	;; [unrolled: 1-line block ×16, first 2 shown]
	s_waitcnt lgkmcnt(1)
	v_dot2c_f32_f16_e32 v58, v76, v68
	v_dot2c_f32_f16_e32 v59, v76, v69
	;; [unrolled: 1-line block ×16, first 2 shown]
	ds_read_b128 v[76:79], v66 offset:1024
	s_waitcnt lgkmcnt(1)
	v_dot2c_f32_f16_e32 v2, v72, v80
	v_dot2c_f32_f16_e32 v3, v72, v81
	;; [unrolled: 1-line block ×16, first 2 shown]
	ds_read_b128 v[80:83], v67 offset:17408
	v_dot2c_f32_f16_e32 v6, v72, v68
	v_dot2c_f32_f16_e32 v7, v72, v69
	;; [unrolled: 1-line block ×16, first 2 shown]
	ds_read_b128 v[68:71], v67 offset:17664
	ds_read_b128 v[72:75], v66 offset:1280
	s_waitcnt lgkmcnt(2)
	v_dot2c_f32_f16_e32 v62, v76, v80
	v_dot2c_f32_f16_e32 v63, v76, v81
	;; [unrolled: 1-line block ×16, first 2 shown]
	s_waitcnt lgkmcnt(1)
	v_dot2c_f32_f16_e32 v58, v76, v68
	v_dot2c_f32_f16_e32 v59, v76, v69
	;; [unrolled: 1-line block ×16, first 2 shown]
	ds_read_b128 v[76:79], v66 offset:1536
	s_waitcnt lgkmcnt(1)
	v_dot2c_f32_f16_e32 v2, v72, v80
	v_dot2c_f32_f16_e32 v3, v72, v81
	;; [unrolled: 1-line block ×16, first 2 shown]
	ds_read_b128 v[80:83], v67 offset:17920
	v_dot2c_f32_f16_e32 v6, v72, v68
	v_dot2c_f32_f16_e32 v7, v72, v69
	;; [unrolled: 1-line block ×16, first 2 shown]
	ds_read_b128 v[68:71], v67 offset:18176
	ds_read_b128 v[72:75], v66 offset:1792
	s_waitcnt lgkmcnt(2)
	v_dot2c_f32_f16_e32 v62, v76, v80
	v_dot2c_f32_f16_e32 v63, v76, v81
	;; [unrolled: 1-line block ×16, first 2 shown]
	s_waitcnt lgkmcnt(1)
	v_dot2c_f32_f16_e32 v58, v76, v68
	v_dot2c_f32_f16_e32 v59, v76, v69
	;; [unrolled: 1-line block ×16, first 2 shown]
	ds_read_b128 v[76:79], v66 offset:2048
	s_waitcnt lgkmcnt(1)
	v_dot2c_f32_f16_e32 v2, v72, v80
	v_dot2c_f32_f16_e32 v3, v72, v81
	;; [unrolled: 1-line block ×16, first 2 shown]
	ds_read_b128 v[80:83], v67 offset:18432
	v_dot2c_f32_f16_e32 v6, v72, v68
	v_dot2c_f32_f16_e32 v7, v72, v69
	;; [unrolled: 1-line block ×16, first 2 shown]
	ds_read_b128 v[68:71], v67 offset:18688
	ds_read_b128 v[72:75], v66 offset:2304
	s_waitcnt lgkmcnt(2)
	v_dot2c_f32_f16_e32 v62, v76, v80
	v_dot2c_f32_f16_e32 v63, v76, v81
	;; [unrolled: 1-line block ×16, first 2 shown]
	s_waitcnt lgkmcnt(1)
	v_dot2c_f32_f16_e32 v58, v76, v68
	v_dot2c_f32_f16_e32 v59, v76, v69
	;; [unrolled: 1-line block ×16, first 2 shown]
	ds_read_b128 v[76:79], v66 offset:2560
	s_waitcnt lgkmcnt(1)
	v_dot2c_f32_f16_e32 v2, v72, v80
	v_dot2c_f32_f16_e32 v3, v72, v81
	;; [unrolled: 1-line block ×16, first 2 shown]
	ds_read_b128 v[80:83], v67 offset:18944
	v_dot2c_f32_f16_e32 v6, v72, v68
	v_dot2c_f32_f16_e32 v7, v72, v69
	;; [unrolled: 1-line block ×16, first 2 shown]
	ds_read_b128 v[68:71], v67 offset:19200
	ds_read_b128 v[72:75], v66 offset:2816
	s_waitcnt lgkmcnt(2)
	v_dot2c_f32_f16_e32 v62, v76, v80
	v_dot2c_f32_f16_e32 v63, v76, v81
	;; [unrolled: 1-line block ×16, first 2 shown]
	s_waitcnt lgkmcnt(1)
	v_dot2c_f32_f16_e32 v58, v76, v68
	v_dot2c_f32_f16_e32 v59, v76, v69
	;; [unrolled: 1-line block ×16, first 2 shown]
	ds_read_b128 v[76:79], v66 offset:3072
	s_waitcnt lgkmcnt(1)
	v_dot2c_f32_f16_e32 v2, v72, v80
	v_dot2c_f32_f16_e32 v3, v72, v81
	;; [unrolled: 1-line block ×16, first 2 shown]
	ds_read_b128 v[80:83], v67 offset:19456
	v_dot2c_f32_f16_e32 v6, v72, v68
	v_dot2c_f32_f16_e32 v7, v72, v69
	;; [unrolled: 1-line block ×16, first 2 shown]
	ds_read_b128 v[68:71], v67 offset:19712
	ds_read_b128 v[72:75], v66 offset:3328
	s_waitcnt lgkmcnt(2)
	v_dot2c_f32_f16_e32 v62, v76, v80
	v_dot2c_f32_f16_e32 v63, v76, v81
	;; [unrolled: 1-line block ×16, first 2 shown]
	s_waitcnt lgkmcnt(1)
	v_dot2c_f32_f16_e32 v58, v76, v68
	v_dot2c_f32_f16_e32 v59, v76, v69
	v_dot2c_f32_f16_e32 v56, v76, v70
	v_dot2c_f32_f16_e32 v57, v76, v71
	v_dot2c_f32_f16_e32 v54, v77, v68
	v_dot2c_f32_f16_e32 v55, v77, v69
	v_dot2c_f32_f16_e32 v52, v77, v70
	v_dot2c_f32_f16_e32 v53, v77, v71
	v_dot2c_f32_f16_e32 v44, v78, v68
	v_dot2c_f32_f16_e32 v45, v78, v69
	v_dot2c_f32_f16_e32 v40, v78, v70
	v_dot2c_f32_f16_e32 v41, v78, v71
	v_dot2c_f32_f16_e32 v38, v79, v68
	v_dot2c_f32_f16_e32 v39, v79, v69
	v_dot2c_f32_f16_e32 v36, v79, v70
	v_dot2c_f32_f16_e32 v37, v79, v71
	ds_read_b128 v[76:79], v66 offset:3584
	s_waitcnt lgkmcnt(1)
	v_dot2c_f32_f16_e32 v2, v72, v80
	v_dot2c_f32_f16_e32 v3, v72, v81
	;; [unrolled: 1-line block ×16, first 2 shown]
	ds_read_b128 v[80:83], v67 offset:19968
	v_dot2c_f32_f16_e32 v6, v72, v68
	v_dot2c_f32_f16_e32 v7, v72, v69
	;; [unrolled: 1-line block ×16, first 2 shown]
	ds_read_b128 v[68:71], v67 offset:20224
	ds_read_b128 v[72:75], v66 offset:3840
	s_waitcnt lgkmcnt(2)
	v_dot2c_f32_f16_e32 v62, v76, v80
	v_dot2c_f32_f16_e32 v63, v76, v81
	;; [unrolled: 1-line block ×16, first 2 shown]
	s_waitcnt lgkmcnt(1)
	v_dot2c_f32_f16_e32 v58, v76, v68
	v_dot2c_f32_f16_e32 v59, v76, v69
	;; [unrolled: 1-line block ×16, first 2 shown]
	ds_read_b128 v[76:79], v66 offset:4096
	s_waitcnt lgkmcnt(1)
	v_dot2c_f32_f16_e32 v2, v72, v80
	v_dot2c_f32_f16_e32 v3, v72, v81
	;; [unrolled: 1-line block ×16, first 2 shown]
	ds_read_b128 v[80:83], v67 offset:20480
	v_dot2c_f32_f16_e32 v6, v72, v68
	v_dot2c_f32_f16_e32 v7, v72, v69
	;; [unrolled: 1-line block ×16, first 2 shown]
	ds_read_b128 v[68:71], v67 offset:20736
	ds_read_b128 v[72:75], v66 offset:4352
	s_waitcnt lgkmcnt(2)
	v_dot2c_f32_f16_e32 v62, v76, v80
	v_dot2c_f32_f16_e32 v63, v76, v81
	;; [unrolled: 1-line block ×16, first 2 shown]
	s_waitcnt lgkmcnt(1)
	v_dot2c_f32_f16_e32 v58, v76, v68
	v_dot2c_f32_f16_e32 v59, v76, v69
	;; [unrolled: 1-line block ×16, first 2 shown]
	ds_read_b128 v[76:79], v66 offset:4608
	s_waitcnt lgkmcnt(1)
	v_dot2c_f32_f16_e32 v2, v72, v80
	v_dot2c_f32_f16_e32 v3, v72, v81
	;; [unrolled: 1-line block ×16, first 2 shown]
	ds_read_b128 v[80:83], v67 offset:20992
	v_dot2c_f32_f16_e32 v6, v72, v68
	v_dot2c_f32_f16_e32 v7, v72, v69
	;; [unrolled: 1-line block ×16, first 2 shown]
	ds_read_b128 v[68:71], v67 offset:21248
	ds_read_b128 v[72:75], v66 offset:4864
	s_waitcnt lgkmcnt(2)
	v_dot2c_f32_f16_e32 v62, v76, v80
	v_dot2c_f32_f16_e32 v63, v76, v81
	;; [unrolled: 1-line block ×16, first 2 shown]
	s_waitcnt lgkmcnt(1)
	v_dot2c_f32_f16_e32 v58, v76, v68
	v_dot2c_f32_f16_e32 v59, v76, v69
	;; [unrolled: 1-line block ×16, first 2 shown]
	ds_read_b128 v[76:79], v66 offset:5120
	s_waitcnt lgkmcnt(1)
	v_dot2c_f32_f16_e32 v2, v72, v80
	v_dot2c_f32_f16_e32 v3, v72, v81
	;; [unrolled: 1-line block ×16, first 2 shown]
	ds_read_b128 v[80:83], v67 offset:21504
	v_dot2c_f32_f16_e32 v6, v72, v68
	v_dot2c_f32_f16_e32 v7, v72, v69
	;; [unrolled: 1-line block ×16, first 2 shown]
	ds_read_b128 v[68:71], v67 offset:21760
	ds_read_b128 v[72:75], v66 offset:5376
	s_waitcnt lgkmcnt(2)
	v_dot2c_f32_f16_e32 v62, v76, v80
	v_dot2c_f32_f16_e32 v63, v76, v81
	v_dot2c_f32_f16_e32 v60, v76, v82
	v_dot2c_f32_f16_e32 v61, v76, v83
	v_dot2c_f32_f16_e32 v50, v77, v80
	v_dot2c_f32_f16_e32 v51, v77, v81
	v_dot2c_f32_f16_e32 v48, v77, v82
	v_dot2c_f32_f16_e32 v49, v77, v83
	v_dot2c_f32_f16_e32 v46, v78, v80
	v_dot2c_f32_f16_e32 v47, v78, v81
	v_dot2c_f32_f16_e32 v42, v78, v82
	v_dot2c_f32_f16_e32 v43, v78, v83
	v_dot2c_f32_f16_e32 v28, v79, v80
	v_dot2c_f32_f16_e32 v29, v79, v81
	v_dot2c_f32_f16_e32 v26, v79, v82
	v_dot2c_f32_f16_e32 v27, v79, v83
	s_waitcnt lgkmcnt(1)
	v_dot2c_f32_f16_e32 v58, v76, v68
	v_dot2c_f32_f16_e32 v59, v76, v69
	;; [unrolled: 1-line block ×16, first 2 shown]
	ds_read_b128 v[76:79], v66 offset:5632
	s_waitcnt lgkmcnt(1)
	v_dot2c_f32_f16_e32 v2, v72, v80
	v_dot2c_f32_f16_e32 v3, v72, v81
	;; [unrolled: 1-line block ×16, first 2 shown]
	ds_read_b128 v[80:83], v67 offset:22016
	v_dot2c_f32_f16_e32 v6, v72, v68
	v_dot2c_f32_f16_e32 v7, v72, v69
	;; [unrolled: 1-line block ×16, first 2 shown]
	ds_read_b128 v[68:71], v67 offset:22272
	ds_read_b128 v[72:75], v66 offset:5888
	s_waitcnt lgkmcnt(2)
	v_dot2c_f32_f16_e32 v62, v76, v80
	v_dot2c_f32_f16_e32 v63, v76, v81
	;; [unrolled: 1-line block ×16, first 2 shown]
	s_waitcnt lgkmcnt(1)
	v_dot2c_f32_f16_e32 v58, v76, v68
	v_dot2c_f32_f16_e32 v59, v76, v69
	v_dot2c_f32_f16_e32 v56, v76, v70
	v_dot2c_f32_f16_e32 v57, v76, v71
	v_dot2c_f32_f16_e32 v54, v77, v68
	v_dot2c_f32_f16_e32 v55, v77, v69
	v_dot2c_f32_f16_e32 v52, v77, v70
	v_dot2c_f32_f16_e32 v53, v77, v71
	v_dot2c_f32_f16_e32 v44, v78, v68
	v_dot2c_f32_f16_e32 v45, v78, v69
	v_dot2c_f32_f16_e32 v40, v78, v70
	v_dot2c_f32_f16_e32 v41, v78, v71
	v_dot2c_f32_f16_e32 v38, v79, v68
	v_dot2c_f32_f16_e32 v39, v79, v69
	v_dot2c_f32_f16_e32 v36, v79, v70
	v_dot2c_f32_f16_e32 v37, v79, v71
	ds_read_b128 v[76:79], v66 offset:6144
	s_waitcnt lgkmcnt(1)
	v_dot2c_f32_f16_e32 v2, v72, v80
	v_dot2c_f32_f16_e32 v3, v72, v81
	;; [unrolled: 1-line block ×16, first 2 shown]
	ds_read_b128 v[80:83], v67 offset:22528
	v_dot2c_f32_f16_e32 v6, v72, v68
	v_dot2c_f32_f16_e32 v7, v72, v69
	;; [unrolled: 1-line block ×16, first 2 shown]
	ds_read_b128 v[68:71], v67 offset:22784
	ds_read_b128 v[72:75], v66 offset:6400
	s_waitcnt lgkmcnt(2)
	v_dot2c_f32_f16_e32 v62, v76, v80
	v_dot2c_f32_f16_e32 v63, v76, v81
	;; [unrolled: 1-line block ×16, first 2 shown]
	s_waitcnt lgkmcnt(1)
	v_dot2c_f32_f16_e32 v58, v76, v68
	v_dot2c_f32_f16_e32 v59, v76, v69
	;; [unrolled: 1-line block ×16, first 2 shown]
	ds_read_b128 v[76:79], v66 offset:6656
	s_waitcnt lgkmcnt(1)
	v_dot2c_f32_f16_e32 v2, v72, v80
	v_dot2c_f32_f16_e32 v3, v72, v81
	;; [unrolled: 1-line block ×16, first 2 shown]
	ds_read_b128 v[80:83], v67 offset:23040
	v_dot2c_f32_f16_e32 v6, v72, v68
	v_dot2c_f32_f16_e32 v7, v72, v69
	;; [unrolled: 1-line block ×16, first 2 shown]
	ds_read_b128 v[68:71], v67 offset:23296
	ds_read_b128 v[72:75], v66 offset:6912
	s_waitcnt lgkmcnt(2)
	v_dot2c_f32_f16_e32 v62, v76, v80
	v_dot2c_f32_f16_e32 v63, v76, v81
	v_dot2c_f32_f16_e32 v60, v76, v82
	v_dot2c_f32_f16_e32 v61, v76, v83
	v_dot2c_f32_f16_e32 v50, v77, v80
	v_dot2c_f32_f16_e32 v51, v77, v81
	v_dot2c_f32_f16_e32 v48, v77, v82
	v_dot2c_f32_f16_e32 v49, v77, v83
	v_dot2c_f32_f16_e32 v46, v78, v80
	v_dot2c_f32_f16_e32 v47, v78, v81
	v_dot2c_f32_f16_e32 v42, v78, v82
	v_dot2c_f32_f16_e32 v43, v78, v83
	v_dot2c_f32_f16_e32 v28, v79, v80
	v_dot2c_f32_f16_e32 v29, v79, v81
	v_dot2c_f32_f16_e32 v26, v79, v82
	v_dot2c_f32_f16_e32 v27, v79, v83
	s_waitcnt lgkmcnt(1)
	v_dot2c_f32_f16_e32 v58, v76, v68
	v_dot2c_f32_f16_e32 v59, v76, v69
	v_dot2c_f32_f16_e32 v56, v76, v70
	v_dot2c_f32_f16_e32 v57, v76, v71
	v_dot2c_f32_f16_e32 v54, v77, v68
	v_dot2c_f32_f16_e32 v55, v77, v69
	v_dot2c_f32_f16_e32 v52, v77, v70
	v_dot2c_f32_f16_e32 v53, v77, v71
	v_dot2c_f32_f16_e32 v44, v78, v68
	v_dot2c_f32_f16_e32 v45, v78, v69
	v_dot2c_f32_f16_e32 v40, v78, v70
	v_dot2c_f32_f16_e32 v41, v78, v71
	v_dot2c_f32_f16_e32 v38, v79, v68
	v_dot2c_f32_f16_e32 v39, v79, v69
	v_dot2c_f32_f16_e32 v36, v79, v70
	v_dot2c_f32_f16_e32 v37, v79, v71
	ds_read_b128 v[76:79], v66 offset:7168
	s_waitcnt lgkmcnt(1)
	v_dot2c_f32_f16_e32 v2, v72, v80
	v_dot2c_f32_f16_e32 v3, v72, v81
	;; [unrolled: 1-line block ×16, first 2 shown]
	ds_read_b128 v[80:83], v67 offset:23552
	v_dot2c_f32_f16_e32 v6, v72, v68
	v_dot2c_f32_f16_e32 v7, v72, v69
	;; [unrolled: 1-line block ×16, first 2 shown]
	ds_read_b128 v[68:71], v67 offset:23808
	ds_read_b128 v[72:75], v66 offset:7424
	s_waitcnt lgkmcnt(2)
	v_dot2c_f32_f16_e32 v62, v76, v80
	v_dot2c_f32_f16_e32 v63, v76, v81
	;; [unrolled: 1-line block ×16, first 2 shown]
	s_waitcnt lgkmcnt(1)
	v_dot2c_f32_f16_e32 v58, v76, v68
	v_dot2c_f32_f16_e32 v59, v76, v69
	v_dot2c_f32_f16_e32 v56, v76, v70
	v_dot2c_f32_f16_e32 v57, v76, v71
	v_dot2c_f32_f16_e32 v54, v77, v68
	v_dot2c_f32_f16_e32 v55, v77, v69
	v_dot2c_f32_f16_e32 v52, v77, v70
	v_dot2c_f32_f16_e32 v53, v77, v71
	v_dot2c_f32_f16_e32 v44, v78, v68
	v_dot2c_f32_f16_e32 v45, v78, v69
	v_dot2c_f32_f16_e32 v40, v78, v70
	v_dot2c_f32_f16_e32 v41, v78, v71
	v_dot2c_f32_f16_e32 v38, v79, v68
	v_dot2c_f32_f16_e32 v39, v79, v69
	v_dot2c_f32_f16_e32 v36, v79, v70
	v_dot2c_f32_f16_e32 v37, v79, v71
	ds_read_b128 v[76:79], v66 offset:7680
	s_waitcnt lgkmcnt(1)
	v_dot2c_f32_f16_e32 v2, v72, v80
	v_dot2c_f32_f16_e32 v3, v72, v81
	;; [unrolled: 1-line block ×16, first 2 shown]
	ds_read_b128 v[80:83], v67 offset:24064
	v_or_b32_e32 v91, s13, v65
	v_dot2c_f32_f16_e32 v6, v72, v68
	v_dot2c_f32_f16_e32 v7, v72, v69
	;; [unrolled: 1-line block ×16, first 2 shown]
	ds_read_b128 v[68:71], v67 offset:24320
	ds_read_b128 v[72:75], v66 offset:7936
	v_add_u32_e32 v90, s14, v64
	v_mul_lo_u32 v64, v91, s34
	v_mad_u64_u32 v[64:65], s[2:3], v90, s35, v[64:65]
	s_lshl_b32 s18, s11, 1
	s_and_b32 s17, s17, 0xffff
	s_mov_b32 s19, s31
	v_lshlrev_b32_e32 v65, 1, v64
	s_lshl_b32 s21, s35, 6
	buffer_load_dwordx2 v[66:67], v65, s[16:19], 0 offen
	v_add_lshl_u32 v65, v64, s21, 1
	s_waitcnt lgkmcnt(2)
	v_dot2c_f32_f16_e32 v62, v76, v80
	v_dot2c_f32_f16_e32 v63, v76, v81
	;; [unrolled: 1-line block ×8, first 2 shown]
	s_waitcnt lgkmcnt(1)
	v_dot2c_f32_f16_e32 v58, v76, v68
	v_dot2c_f32_f16_e32 v59, v76, v69
	;; [unrolled: 1-line block ×8, first 2 shown]
	buffer_load_dwordx2 v[76:77], v65, s[16:19], 0 offen
	v_add_u32_e32 v84, s34, v64
	v_add_u32_e32 v86, s34, v84
	v_dot2c_f32_f16_e32 v46, v78, v80
	v_dot2c_f32_f16_e32 v47, v78, v81
	;; [unrolled: 1-line block ×9, first 2 shown]
	s_waitcnt lgkmcnt(0)
	v_dot2c_f32_f16_e32 v2, v72, v80
	v_dot2c_f32_f16_e32 v14, v73, v80
	;; [unrolled: 1-line block ×3, first 2 shown]
	v_lshlrev_b32_e32 v64, 1, v84
	v_add_lshl_u32 v78, v84, s21, 1
	v_dot2c_f32_f16_e32 v34, v75, v80
	v_lshlrev_b32_e32 v80, 1, v86
	v_dot2c_f32_f16_e32 v29, v79, v81
	v_dot2c_f32_f16_e32 v26, v79, v82
	;; [unrolled: 1-line block ×7, first 2 shown]
	buffer_load_dwordx2 v[78:79], v78, s[16:19], 0 offen
	v_dot2c_f32_f16_e32 v3, v72, v81
	buffer_load_dwordx2 v[84:85], v80, s[16:19], 0 offen
	v_add_lshl_u32 v80, v86, s21, 1
	buffer_load_dwordx2 v[64:65], v64, s[16:19], 0 offen
	v_dot2c_f32_f16_e32 v0, v72, v82
	v_dot2c_f32_f16_e32 v15, v73, v81
	;; [unrolled: 1-line block ×6, first 2 shown]
	buffer_load_dwordx2 v[80:81], v80, s[16:19], 0 offen
	v_dot2c_f32_f16_e32 v30, v75, v82
	v_add_u32_e32 v82, s34, v86
	v_dot2c_f32_f16_e32 v1, v72, v83
	v_dot2c_f32_f16_e32 v11, v73, v83
	;; [unrolled: 1-line block ×4, first 2 shown]
	v_lshlrev_b32_e32 v83, 1, v82
	buffer_load_dwordx2 v[86:87], v83, s[16:19], 0 offen
	v_add_lshl_u32 v83, v82, s21, 1
	buffer_load_dwordx2 v[88:89], v83, s[16:19], 0 offen
	v_dot2c_f32_f16_e32 v24, v74, v68
	v_dot2c_f32_f16_e32 v25, v74, v69
	;; [unrolled: 1-line block ×4, first 2 shown]
	v_add_u32_e32 v74, 64, v90
	v_cmp_gt_i32_e64 s[2:3], s50, v90
	v_cmp_gt_i32_e32 vcc, s33, v91
	v_cmp_gt_i32_e64 s[4:5], s50, v74
	s_load_dwordx2 s[10:11], s[0:1], 0x1a8
	s_load_dword s20, s[0:1], 0x1b4
	s_load_dword s22, s[0:1], 0x1c0
	;; [unrolled: 1-line block ×3, first 2 shown]
	s_and_b64 s[0:1], vcc, s[2:3]
	s_and_b64 vcc, vcc, s[4:5]
	v_dot2c_f32_f16_e32 v6, v72, v68
	v_dot2c_f32_f16_e32 v7, v72, v69
	;; [unrolled: 1-line block ×9, first 2 shown]
	s_waitcnt vmcnt(7)
	v_cndmask_b32_e64 v69, 0, v67, s[0:1]
	v_cndmask_b32_e64 v67, 0, v66, s[0:1]
	v_dot2c_f32_f16_e32 v12, v73, v68
	v_or_b32_e32 v92, 2, v91
	v_cvt_f32_f16_e32 v66, v67
	v_cvt_f32_f16_sdwa v67, v67 dst_sel:DWORD dst_unused:UNUSED_PAD src0_sel:WORD_1
	v_cvt_f32_f16_e32 v68, v69
	v_cvt_f32_f16_sdwa v69, v69 dst_sel:DWORD dst_unused:UNUSED_PAD src0_sel:WORD_1
	v_or_b32_e32 v93, 3, v91
	v_pk_add_f32 v[62:63], v[62:63], v[66:67]
	v_dot2c_f32_f16_e32 v8, v73, v70
	v_pk_add_f32 v[60:61], v[60:61], v[68:69]
	s_waitcnt vmcnt(6)
	v_cndmask_b32_e32 v72, 0, v76, vcc
	v_or_b32_e32 v76, 1, v91
	v_cndmask_b32_e32 v75, 0, v77, vcc
	v_cmp_gt_i32_e32 vcc, s33, v76
	s_and_b64 s[0:1], vcc, s[2:3]
	s_and_b64 vcc, vcc, s[4:5]
	v_max_f32_e32 v63, 0, v63
	v_max_f32_e32 v62, 0, v62
	;; [unrolled: 1-line block ×4, first 2 shown]
	v_dot2c_f32_f16_e32 v9, v73, v71
	v_cvt_pk_f16_f32 v62, v62, v63
	v_cvt_pk_f16_f32 v63, v60, v61
	s_waitcnt lgkmcnt(0)
	v_mul_lo_u32 v60, v91, s10
	v_cmp_gt_i32_e64 s[6:7], s20, v91
	s_lshl_b32 s14, s8, 1
	s_and_b32 s13, s9, 0xffff
	s_mov_b32 s15, s31
	s_waitcnt vmcnt(5)
	v_cndmask_b32_e32 v79, 0, v79, vcc
	v_cndmask_b32_e32 v78, 0, v78, vcc
	v_cmp_gt_i32_e32 vcc, s33, v92
	s_waitcnt vmcnt(3)
	v_cndmask_b32_e64 v77, 0, v65, s[0:1]
	v_cndmask_b32_e64 v83, 0, v64, s[0:1]
	s_and_b64 s[0:1], vcc, s[2:3]
	s_and_b64 vcc, vcc, s[4:5]
	v_cndmask_b32_e64 v85, 0, v85, s[0:1]
	v_cndmask_b32_e64 v84, 0, v84, s[0:1]
	s_waitcnt vmcnt(2)
	v_cndmask_b32_e32 v81, 0, v81, vcc
	v_cndmask_b32_e32 v80, 0, v80, vcc
	v_cmp_gt_i32_e32 vcc, s33, v93
	s_and_b64 s[0:1], vcc, s[2:3]
	s_and_b64 vcc, vcc, s[4:5]
	s_waitcnt vmcnt(1)
	v_cndmask_b32_e64 v87, 0, v87, s[0:1]
	v_cndmask_b32_e64 v86, 0, v86, s[0:1]
	v_mad_u64_u32 v[64:65], s[0:1], s34, 61, v[82:83]
	v_lshlrev_b32_e32 v70, 1, v64
	v_add_lshl_u32 v71, v64, s21, 1
	v_add_u32_e32 v82, s34, v64
	s_waitcnt vmcnt(0)
	v_cndmask_b32_e32 v89, 0, v89, vcc
	v_cndmask_b32_e32 v88, 0, v88, vcc
	v_lshlrev_b32_e32 v73, 1, v82
	buffer_load_dwordx2 v[64:65], v70, s[16:19], 0 offen
	buffer_load_dwordx2 v[66:67], v71, s[16:19], 0 offen
	;; [unrolled: 1-line block ×3, first 2 shown]
	v_mad_u64_u32 v[70:71], s[0:1], v90, s11, v[60:61]
	v_cmp_gt_i32_e32 vcc, s22, v90
	v_bfrev_b32_e32 v60, 1
	s_and_b64 s[0:1], s[6:7], vcc
	v_cndmask_b32_e64 v61, v60, 0, s[0:1]
	v_lshl_add_u32 v61, v70, 1, v61
	buffer_store_dwordx2 v[62:63], v61, s[12:15], 0 offen
	v_add_lshl_u32 v61, v82, s21, 1
	v_cvt_f32_f16_e32 v62, v72
	v_cvt_f32_f16_sdwa v63, v72 dst_sel:DWORD dst_unused:UNUSED_PAD src0_sel:WORD_1
	buffer_load_dwordx2 v[72:73], v61, s[16:19], 0 offen
	v_or_b32_e32 v71, 0x41, v91
	s_lshl_b32 s11, s11, 6
	v_pk_add_f32 v[62:63], v[58:59], v[62:63]
	v_or_b32_e32 v58, 64, v91
	v_cmp_gt_i32_e64 s[0:1], s33, v58
	s_and_b64 s[8:9], s[0:1], s[2:3]
	s_and_b64 s[0:1], s[0:1], s[4:5]
	v_max_f32_e32 v63, 0, v63
	v_max_f32_e32 v62, 0, v62
	v_add_u32_e32 v90, s11, v70
	s_waitcnt vmcnt(4)
	v_cndmask_b32_e64 v59, 0, v65, s[8:9]
	v_cndmask_b32_e64 v61, 0, v64, s[8:9]
	v_cvt_f32_f16_e32 v64, v75
	v_cvt_f32_f16_sdwa v65, v75 dst_sel:DWORD dst_unused:UNUSED_PAD src0_sel:WORD_1
	s_waitcnt vmcnt(3)
	v_cndmask_b32_e64 v67, 0, v67, s[0:1]
	v_cndmask_b32_e64 v66, 0, v66, s[0:1]
	v_cmp_gt_i32_e64 s[0:1], s33, v71
	s_and_b64 s[8:9], s[0:1], s[2:3]
	s_and_b64 s[0:1], s[0:1], s[4:5]
	v_pk_add_f32 v[56:57], v[56:57], v[64:65]
	v_add_u32_e32 v75, s34, v82
	v_max_f32_e32 v57, 0, v57
	v_max_f32_e32 v64, 0, v56
	v_cvt_pk_f16_f32 v56, v62, v63
	s_waitcnt vmcnt(0)
	v_cndmask_b32_e64 v73, 0, v73, s[0:1]
	v_cndmask_b32_e64 v72, 0, v72, s[0:1]
	v_cmp_gt_i32_e64 s[0:1], s22, v74
	s_and_b64 s[6:7], s[6:7], s[0:1]
	v_cvt_pk_f16_f32 v57, v64, v57
	v_cvt_f32_f16_e32 v62, v78
	v_cvt_f32_f16_sdwa v63, v78 dst_sel:DWORD dst_unused:UNUSED_PAD src0_sel:WORD_1
	v_cndmask_b32_e64 v64, v60, 0, s[6:7]
	v_lshl_add_u32 v64, v90, 1, v64
	buffer_store_dwordx2 v[56:57], v64, s[12:15], 0 offen
	v_cvt_f32_f16_e32 v56, v79
	v_cvt_f32_f16_sdwa v57, v79 dst_sel:DWORD dst_unused:UNUSED_PAD src0_sel:WORD_1
	v_lshlrev_b32_e32 v82, 1, v75
	v_add_lshl_u32 v74, v75, s21, 1
	v_pk_add_f32 v[54:55], v[54:55], v[62:63]
	buffer_load_dwordx2 v[62:63], v82, s[16:19], 0 offen
	buffer_load_dwordx2 v[64:65], v74, s[16:19], 0 offen
	v_add_u32_e32 v74, s34, v75
	v_lshlrev_b32_e32 v75, 1, v74
	v_pk_add_f32 v[52:53], v[52:53], v[56:57]
	buffer_load_dwordx2 v[56:57], v75, s[16:19], 0 offen
	v_add_lshl_u32 v74, v74, s21, 1
	v_max_f32_e32 v75, 0, v53
	v_max_f32_e32 v78, 0, v52
	buffer_load_dwordx2 v[52:53], v74, s[16:19], 0 offen
	v_or_b32_e32 v74, 0x42, v91
	v_max_f32_e32 v55, 0, v55
	v_max_f32_e32 v54, 0, v54
	v_cmp_gt_i32_e64 s[6:7], s33, v74
	v_cndmask_b32_e64 v69, 0, v69, s[8:9]
	v_cndmask_b32_e64 v68, 0, v68, s[8:9]
	v_cvt_pk_f16_f32 v54, v54, v55
	v_cvt_pk_f16_f32 v55, v78, v75
	s_and_b64 s[8:9], s[6:7], s[2:3]
	s_and_b64 s[6:7], s[6:7], s[4:5]
	v_or_b32_e32 v75, 0x43, v91
	v_add_u32_e32 v82, s10, v90
	s_waitcnt vmcnt(3)
	v_cndmask_b32_e64 v62, 0, v62, s[8:9]
	s_waitcnt vmcnt(2)
	v_cndmask_b32_e64 v65, 0, v65, s[6:7]
	v_cndmask_b32_e64 v64, 0, v64, s[6:7]
	v_cmp_gt_i32_e64 s[6:7], s33, v75
	s_and_b64 s[2:3], s[6:7], s[2:3]
	s_waitcnt vmcnt(1)
	v_cndmask_b32_e64 v57, 0, v57, s[2:3]
	v_cndmask_b32_e64 v56, 0, v56, s[2:3]
	s_and_b64 s[2:3], s[6:7], s[4:5]
	s_lshl_b32 s6, s10, 6
	s_waitcnt vmcnt(0)
	v_cndmask_b32_e64 v78, 0, v53, s[2:3]
	v_cndmask_b32_e64 v79, 0, v52, s[2:3]
	v_cvt_f32_f16_e32 v52, v83
	v_cvt_f32_f16_sdwa v53, v83 dst_sel:DWORD dst_unused:UNUSED_PAD src0_sel:WORD_1
	v_cmp_gt_i32_e64 s[2:3], s20, v76
	s_and_b64 s[4:5], s[2:3], s[0:1]
	v_cndmask_b32_e64 v76, v60, 0, s[4:5]
	v_pk_add_f32 v[50:51], v[50:51], v[52:53]
	v_cvt_f32_f16_e32 v52, v77
	v_cvt_f32_f16_sdwa v53, v77 dst_sel:DWORD dst_unused:UNUSED_PAD src0_sel:WORD_1
	v_max_f32_e32 v51, 0, v51
	v_max_f32_e32 v50, 0, v50
	v_cvt_pk_f16_f32 v50, v50, v51
	v_pk_add_f32 v[48:49], v[48:49], v[52:53]
	v_lshl_add_u32 v76, v82, 1, v76
	v_max_f32_e32 v49, 0, v49
	v_max_f32_e32 v48, 0, v48
	v_cvt_pk_f16_f32 v51, v48, v49
	v_cvt_f32_f16_e32 v48, v84
	v_cvt_f32_f16_sdwa v49, v84 dst_sel:DWORD dst_unused:UNUSED_PAD src0_sel:WORD_1
	s_and_b64 s[2:3], s[2:3], vcc
	buffer_store_dwordx2 v[54:55], v76, s[12:15], 0 offen
	v_add_u32_e32 v54, s10, v70
	v_pk_add_f32 v[46:47], v[46:47], v[48:49]
	v_cvt_f32_f16_e32 v48, v85
	v_cvt_f32_f16_sdwa v49, v85 dst_sel:DWORD dst_unused:UNUSED_PAD src0_sel:WORD_1
	v_max_f32_e32 v47, 0, v47
	v_max_f32_e32 v46, 0, v46
	v_cvt_pk_f16_f32 v46, v46, v47
	v_pk_add_f32 v[42:43], v[42:43], v[48:49]
	v_cndmask_b32_e64 v52, v60, 0, s[2:3]
	v_max_f32_e32 v43, 0, v43
	v_max_f32_e32 v42, 0, v42
	v_cvt_pk_f16_f32 v47, v42, v43
	v_cvt_f32_f16_e32 v42, v80
	v_cvt_f32_f16_sdwa v43, v80 dst_sel:DWORD dst_unused:UNUSED_PAD src0_sel:WORD_1
	v_cmp_gt_i32_e64 s[2:3], s20, v92
	v_lshl_add_u32 v52, v54, 1, v52
	s_and_b64 s[4:5], s[2:3], vcc
	v_pk_add_f32 v[42:43], v[44:45], v[42:43]
	v_cvt_f32_f16_e32 v44, v81
	v_cvt_f32_f16_sdwa v45, v81 dst_sel:DWORD dst_unused:UNUSED_PAD src0_sel:WORD_1
	v_max_f32_e32 v43, 0, v43
	v_max_f32_e32 v42, 0, v42
	v_cvt_pk_f16_f32 v42, v42, v43
	v_pk_add_f32 v[40:41], v[40:41], v[44:45]
	buffer_store_dwordx2 v[50:51], v52, s[12:15], 0 offen
	v_max_f32_e32 v41, 0, v41
	v_max_f32_e32 v40, 0, v40
	v_cvt_pk_f16_f32 v43, v40, v41
	v_cvt_f32_f16_e32 v40, v88
	v_cvt_f32_f16_sdwa v41, v88 dst_sel:DWORD dst_unused:UNUSED_PAD src0_sel:WORD_1
	v_add_u32_e32 v50, s10, v54
	v_cndmask_b32_e64 v48, v60, 0, s[4:5]
	v_lshl_add_u32 v48, v50, 1, v48
	v_pk_add_f32 v[38:39], v[38:39], v[40:41]
	v_cvt_f32_f16_e32 v40, v89
	v_cvt_f32_f16_sdwa v41, v89 dst_sel:DWORD dst_unused:UNUSED_PAD src0_sel:WORD_1
	v_max_f32_e32 v39, 0, v39
	v_max_f32_e32 v38, 0, v38
	v_cvt_pk_f16_f32 v38, v38, v39
	v_pk_add_f32 v[36:37], v[36:37], v[40:41]
	s_and_b64 s[2:3], s[2:3], s[0:1]
	v_max_f32_e32 v37, 0, v37
	v_max_f32_e32 v36, 0, v36
	v_cvt_pk_f16_f32 v39, v36, v37
	v_cvt_f32_f16_e32 v36, v86
	v_cvt_f32_f16_sdwa v37, v86 dst_sel:DWORD dst_unused:UNUSED_PAD src0_sel:WORD_1
	buffer_store_dwordx2 v[46:47], v48, s[12:15], 0 offen
	v_add_u32_e32 v46, s10, v82
	v_cndmask_b32_e64 v44, v60, 0, s[2:3]
	v_pk_add_f32 v[28:29], v[28:29], v[36:37]
	v_cvt_f32_f16_e32 v36, v87
	v_cvt_f32_f16_sdwa v37, v87 dst_sel:DWORD dst_unused:UNUSED_PAD src0_sel:WORD_1
	v_cmp_gt_i32_e64 s[2:3], s20, v93
	v_lshl_add_u32 v44, v46, 1, v44
	s_and_b64 s[4:5], s[2:3], s[0:1]
	buffer_store_dwordx2 v[42:43], v44, s[12:15], 0 offen
	v_add_u32_e32 v42, s10, v46
	v_cndmask_b32_e64 v40, v60, 0, s[4:5]
	v_pk_add_f32 v[26:27], v[26:27], v[36:37]
	v_lshl_add_u32 v40, v42, 1, v40
	v_max_f32_e32 v29, 0, v29
	v_max_f32_e32 v28, 0, v28
	v_max_f32_e32 v27, 0, v27
	v_max_f32_e32 v26, 0, v26
	s_and_b64 s[2:3], s[2:3], vcc
	buffer_store_dwordx2 v[38:39], v40, s[12:15], 0 offen
	v_subrev_u32_e32 v38, s11, v42
	v_cvt_pk_f16_f32 v28, v28, v29
	v_cvt_pk_f16_f32 v29, v26, v27
	v_cndmask_b32_e64 v26, v60, 0, s[2:3]
	v_lshl_add_u32 v36, v38, 1, v26
	v_cvt_f32_f16_e32 v26, v56
	v_cvt_f32_f16_sdwa v27, v56 dst_sel:DWORD dst_unused:UNUSED_PAD src0_sel:WORD_1
	buffer_store_dwordx2 v[28:29], v36, s[12:15], 0 offen
	v_cvt_f32_f16_e32 v28, v57
	v_cvt_f32_f16_sdwa v29, v57 dst_sel:DWORD dst_unused:UNUSED_PAD src0_sel:WORD_1
	v_pk_add_f32 v[26:27], v[34:35], v[26:27]
	v_cmp_gt_i32_e64 s[2:3], s20, v75
	v_max_f32_e32 v27, 0, v27
	v_max_f32_e32 v26, 0, v26
	v_pk_add_f32 v[28:29], v[30:31], v[28:29]
	v_cvt_pk_f16_f32 v26, v26, v27
	v_max_f32_e32 v27, 0, v29
	v_max_f32_e32 v28, 0, v28
	v_cvt_pk_f16_f32 v27, v28, v27
	v_cvt_f32_f16_e32 v28, v79
	v_cvt_f32_f16_sdwa v29, v79 dst_sel:DWORD dst_unused:UNUSED_PAD src0_sel:WORD_1
	s_and_b64 s[4:5], s[2:3], vcc
	v_add_u32_e32 v36, s6, v38
	v_cndmask_b32_e64 v30, v60, 0, s[4:5]
	v_lshl_add_u32 v30, v36, 1, v30
	buffer_store_dwordx2 v[26:27], v30, s[12:15], 0 offen
	v_pk_add_f32 v[26:27], v[32:33], v[28:29]
	v_cvt_f32_f16_e32 v28, v78
	v_cvt_f32_f16_sdwa v29, v78 dst_sel:DWORD dst_unused:UNUSED_PAD src0_sel:WORD_1
	v_max_f32_e32 v27, 0, v27
	v_max_f32_e32 v26, 0, v26
	v_cvt_pk_f16_f32 v26, v26, v27
	v_pk_add_f32 v[16:17], v[16:17], v[28:29]
	s_and_b64 s[2:3], s[2:3], s[0:1]
	v_max_f32_e32 v17, 0, v17
	v_max_f32_e32 v16, 0, v16
	v_cvt_pk_f16_f32 v27, v16, v17
	v_cvt_f32_f16_e32 v16, v64
	v_cvt_f32_f16_sdwa v17, v64 dst_sel:DWORD dst_unused:UNUSED_PAD src0_sel:WORD_1
	v_add_u32_e32 v30, s6, v42
	v_cndmask_b32_e64 v28, v60, 0, s[2:3]
	v_cmp_ge_i32_e64 s[2:3], s20, v75
	v_pk_add_f32 v[16:17], v[24:25], v[16:17]
	v_cvt_f32_f16_e32 v24, v65
	v_cvt_f32_f16_sdwa v25, v65 dst_sel:DWORD dst_unused:UNUSED_PAD src0_sel:WORD_1
	v_max_f32_e32 v17, 0, v17
	v_max_f32_e32 v16, 0, v16
	v_cvt_pk_f16_f32 v16, v16, v17
	v_pk_add_f32 v[22:23], v[22:23], v[24:25]
	v_lshl_add_u32 v28, v30, 1, v28
	v_max_f32_e32 v17, 0, v23
	v_max_f32_e32 v22, 0, v22
	v_cvt_pk_f16_f32 v17, v22, v17
	v_cvt_f32_f16_e32 v22, v62
	v_cvt_f32_f16_sdwa v23, v62 dst_sel:DWORD dst_unused:UNUSED_PAD src0_sel:WORD_1
	s_and_b64 s[2:3], s[2:3], s[0:1]
	buffer_store_dwordx2 v[26:27], v28, s[12:15], 0 offen
	v_add_u32_e32 v26, s6, v46
	v_cndmask_b32_e64 v24, v60, 0, s[2:3]
	v_cndmask_b32_e64 v63, 0, v63, s[8:9]
	v_lshl_add_u32 v24, v26, 1, v24
	buffer_store_dwordx2 v[16:17], v24, s[12:15], 0 offen
	v_pk_add_f32 v[16:17], v[20:21], v[22:23]
	v_cvt_f32_f16_e32 v20, v63
	v_cvt_f32_f16_sdwa v21, v63 dst_sel:DWORD dst_unused:UNUSED_PAD src0_sel:WORD_1
	v_cmp_gt_i32_e64 s[2:3], s20, v74
	v_max_f32_e32 v17, 0, v17
	v_max_f32_e32 v16, 0, v16
	v_pk_add_f32 v[18:19], v[18:19], v[20:21]
	s_and_b64 s[2:3], s[2:3], vcc
	v_subrev_u32_e32 v24, s11, v26
	v_cvt_pk_f16_f32 v16, v16, v17
	v_max_f32_e32 v17, 0, v19
	v_max_f32_e32 v18, 0, v18
	v_cndmask_b32_e64 v20, v60, 0, s[2:3]
	v_cvt_pk_f16_f32 v17, v18, v17
	v_lshl_add_u32 v20, v24, 1, v20
	v_cvt_f32_f16_e32 v18, v68
	v_cvt_f32_f16_sdwa v19, v68 dst_sel:DWORD dst_unused:UNUSED_PAD src0_sel:WORD_1
	buffer_store_dwordx2 v[16:17], v20, s[12:15], 0 offen
	v_cvt_f32_f16_e32 v16, v69
	v_cvt_f32_f16_sdwa v17, v69 dst_sel:DWORD dst_unused:UNUSED_PAD src0_sel:WORD_1
	v_pk_add_f32 v[14:15], v[14:15], v[18:19]
	v_cmp_ge_i32_e64 s[2:3], s20, v74
	v_max_f32_e32 v15, 0, v15
	v_pk_add_f32 v[10:11], v[10:11], v[16:17]
	v_max_f32_e32 v14, 0, v14
	v_max_f32_e32 v11, 0, v11
	;; [unrolled: 1-line block ×3, first 2 shown]
	v_cvt_pk_f16_f32 v14, v14, v15
	v_cvt_pk_f16_f32 v15, v10, v11
	v_cvt_f32_f16_e32 v10, v72
	v_cvt_f32_f16_sdwa v11, v72 dst_sel:DWORD dst_unused:UNUSED_PAD src0_sel:WORD_1
	s_and_b64 s[2:3], s[2:3], vcc
	v_subrev_u32_e32 v20, s10, v24
	v_cndmask_b32_e64 v16, v60, 0, s[2:3]
	v_pk_add_f32 v[10:11], v[12:13], v[10:11]
	v_cvt_f32_f16_e32 v12, v73
	v_cvt_f32_f16_sdwa v13, v73 dst_sel:DWORD dst_unused:UNUSED_PAD src0_sel:WORD_1
	v_max_f32_e32 v11, 0, v11
	v_max_f32_e32 v10, 0, v10
	v_cvt_pk_f16_f32 v10, v10, v11
	v_pk_add_f32 v[8:9], v[8:9], v[12:13]
	v_cmp_gt_i32_e64 s[2:3], s20, v71
	v_max_f32_e32 v9, 0, v9
	v_max_f32_e32 v8, 0, v8
	v_cvt_pk_f16_f32 v11, v8, v9
	v_cvt_f32_f16_e32 v8, v66
	v_cvt_f32_f16_sdwa v9, v66 dst_sel:DWORD dst_unused:UNUSED_PAD src0_sel:WORD_1
	v_lshl_add_u32 v16, v20, 1, v16
	s_and_b64 s[2:3], s[2:3], s[0:1]
	buffer_store_dwordx2 v[14:15], v16, s[12:15], 0 offen
	v_pk_add_f32 v[6:7], v[6:7], v[8:9]
	v_cvt_f32_f16_e32 v8, v67
	v_cvt_f32_f16_sdwa v9, v67 dst_sel:DWORD dst_unused:UNUSED_PAD src0_sel:WORD_1
	v_max_f32_e32 v7, 0, v7
	v_max_f32_e32 v6, 0, v6
	v_cvt_pk_f16_f32 v6, v6, v7
	v_pk_add_f32 v[4:5], v[4:5], v[8:9]
	v_add_u32_e32 v14, s11, v20
	v_max_f32_e32 v5, 0, v5
	v_max_f32_e32 v4, 0, v4
	v_cvt_pk_f16_f32 v7, v4, v5
	v_cvt_f32_f16_e32 v4, v61
	v_cvt_f32_f16_sdwa v5, v61 dst_sel:DWORD dst_unused:UNUSED_PAD src0_sel:WORD_1
	v_cndmask_b32_e64 v12, v60, 0, s[2:3]
	v_cmp_ge_i32_e64 s[2:3], s20, v71
	v_lshl_add_u32 v12, v14, 1, v12
	v_pk_add_f32 v[2:3], v[2:3], v[4:5]
	v_cvt_f32_f16_e32 v4, v59
	v_cvt_f32_f16_sdwa v5, v59 dst_sel:DWORD dst_unused:UNUSED_PAD src0_sel:WORD_1
	s_and_b64 s[0:1], s[2:3], s[0:1]
	buffer_store_dwordx2 v[10:11], v12, s[12:15], 0 offen
	v_subrev_u32_e32 v10, s10, v14
	v_cndmask_b32_e64 v8, v60, 0, s[0:1]
	v_pk_add_f32 v[0:1], v[0:1], v[4:5]
	v_cmp_gt_i32_e64 s[0:1], s20, v58
	v_lshl_add_u32 v8, v10, 1, v8
	v_max_f32_e32 v3, 0, v3
	v_max_f32_e32 v2, 0, v2
	;; [unrolled: 1-line block ×4, first 2 shown]
	s_and_b64 s[0:1], s[0:1], vcc
	buffer_store_dwordx2 v[6:7], v8, s[12:15], 0 offen
	v_subrev_u32_e32 v6, s11, v10
	v_cvt_pk_f16_f32 v2, v2, v3
	v_cvt_pk_f16_f32 v3, v0, v1
	v_cndmask_b32_e64 v0, v60, 0, s[0:1]
	v_lshl_add_u32 v0, v6, 1, v0
	buffer_store_dwordx2 v[2:3], v0, s[12:15], 0 offen
	s_endpgm
	.section	.rodata,"a",@progbits
	.p2align	6, 0x0
	.amdhsa_kernel _ZN2ck16tensor_operation6device12_GLOBAL__N_137kernel_grouped_conv_fwd_dl_multiple_dINS_32GridwiseGemmDlMultipleD_km_kn_mnILi256EDF16_fNS_5TupleIJDF16_EEEDF16_NS0_12element_wise11PassThroughES8_NS7_7AddReluELNS_25InMemoryDataOperationEnumE0ENS_16TensorDescriptorINS5_IJNS_5EmbedINS5_IJiiiEEESD_Lb0EEENS_11PassThroughIiEENS_3PadIiiiLb0EEESG_SG_NSC_INS5_IJiiEEESJ_Lb0EEESG_NS_23Merge_v2_magic_divisionISJ_EESM_NS_8RightPadIiiLb0EEESO_NS_7UnMergeISJ_Lb0EEESG_EEENS5_IJNS_8SequenceIJLi0EEEENSS_IJLi1EEEENSS_IJLi2EEEENSS_IJLi3EEEENSS_IJLi4EEEENSS_IJLi5EEEENSS_IJLi6EEEENSS_IJLi7ELi9EEEENSS_IJLi8ELi10EEEENSS_IJLi11EEEENSS_IJLi12EEEENSS_IJLi14EEEENSS_IJLi13EEEEEEENS5_IJNSS_IJLi1ELi2ELi3EEEESX_SY_SZ_NSS_IJLi7EEEENSS_IJLi8ELi9EEEENSS_IJLi10EEEES12_S13_S15_S14_NSS_IJLi15ELi16EEEENSS_IJLi17EEEEEEENSS_IJLi15ELi17ELi16EEEElEENSB_INS5_IJSQ_SO_SO_SQ_SG_EEENS5_IJST_SU_SV_SX_SW_EEENS5_IJNSS_IJLi1ELi2EEEESW_SX_NSS_IJLi5ELi6EEEES18_EEENSS_IJLi5ELi7ELi6EEEElEENSB_INS5_IJSK_SO_SO_EEENS5_IJST_SU_SV_EEENS5_IJS1I_SW_SX_EEENSS_IJLi3ELi4EEEElEELi128ELi128ELi16ELi2ELi4ELi4ELi1ENSS_IJLi8ELi2EEEES1S_NSS_IJLi8ELi1ELi1ELi2EEEENSS_IJLi2ELi1ELi128ELi1EEEENSS_IJLi1ELi2ELi0ELi3EEEES1V_NSS_IJLi4ELi1ELi1ELi2EEEES1V_NSS_IJLi1ELi1ELi1ELi2EEEES1T_S1U_S1V_S1V_S1W_S1V_S1X_NSS_IJLi0ELi1ELi2ELi3ELi4ELi5EEEELi5ELi4EEEDF16_NS5_IJPKDF16_EEEDF16_S8_S8_S9_NSB_INS5_IJSE_SG_SI_SG_SG_SK_SG_SM_SM_SO_SO_SQ_SG_SG_NSP_INS5_IJiNS_17integral_constantIiLi128EEEEEELb0EEENSF_INS23_IiLi2EEEEEEEENS5_IJST_SU_SV_SW_SX_SY_SZ_S10_S11_S12_S13_S14_S15_NSS_IJLi15EEEES1C_NSS_IJLi16EEEEEEENS5_IJS17_SX_SY_SZ_S18_S19_S1A_S12_S13_S15_S14_S1B_S1C_NSS_IJLi18EEEENSS_IJLi19ELi20EEEENSS_IJLi21EEEEEEENSS_IJLi18ELi19ELi20ELi21EEEElEENSB_INS5_IJSQ_SO_SO_SQ_SG_SG_S26_S28_EEENS5_IJST_SU_SV_SX_SW_SY_S18_SZ_EEENS5_IJS1I_SW_SX_S1J_S18_NSS_IJLi8EEEENSS_IJLi9ELi10EEEES12_EEENSS_IJLi8ELi9ELi10ELi11EEEElEENS5_IJNSB_INS5_IJSK_SO_SO_NSP_INS5_IJiS27_NS23_IiLi64EEEEEELb0EEES2S_EEENS5_IJST_SU_SV_SW_SX_EEENS5_IJS1I_SW_SX_NSS_IJLi5ELi6ELi7EEEENSS_IJLi8ELi9ELi10EEEEEEENSS_IJLi5ELi6ELi7ELi8ELi9ELi10EEEElEEEEES2Z_NS_31BlockToCTileMap_M00_N00_M01_N01ILi128ELi128ES1R_Lb0EEENS1_30ComputePtrOffsetOfStridedBatchILi1ELi1ELi1EvEELb0ELb0EEEvPKT0_S37_T1_PT2_T3_T4_T5_iT6_T7_T8_T9_T10_T11_
		.amdhsa_group_segment_fixed_size 32768
		.amdhsa_private_segment_fixed_size 0
		.amdhsa_kernarg_size 904
		.amdhsa_user_sgpr_count 2
		.amdhsa_user_sgpr_dispatch_ptr 0
		.amdhsa_user_sgpr_queue_ptr 0
		.amdhsa_user_sgpr_kernarg_segment_ptr 1
		.amdhsa_user_sgpr_dispatch_id 0
		.amdhsa_user_sgpr_kernarg_preload_length 0
		.amdhsa_user_sgpr_kernarg_preload_offset 0
		.amdhsa_user_sgpr_private_segment_size 0
		.amdhsa_uses_dynamic_stack 0
		.amdhsa_enable_private_segment 0
		.amdhsa_system_sgpr_workgroup_id_x 1
		.amdhsa_system_sgpr_workgroup_id_y 0
		.amdhsa_system_sgpr_workgroup_id_z 0
		.amdhsa_system_sgpr_workgroup_info 0
		.amdhsa_system_vgpr_workitem_id 0
		.amdhsa_next_free_vgpr 94
		.amdhsa_next_free_sgpr 96
		.amdhsa_accum_offset 96
		.amdhsa_reserve_vcc 1
		.amdhsa_float_round_mode_32 0
		.amdhsa_float_round_mode_16_64 0
		.amdhsa_float_denorm_mode_32 3
		.amdhsa_float_denorm_mode_16_64 3
		.amdhsa_dx10_clamp 1
		.amdhsa_ieee_mode 1
		.amdhsa_fp16_overflow 0
		.amdhsa_tg_split 0
		.amdhsa_exception_fp_ieee_invalid_op 0
		.amdhsa_exception_fp_denorm_src 0
		.amdhsa_exception_fp_ieee_div_zero 0
		.amdhsa_exception_fp_ieee_overflow 0
		.amdhsa_exception_fp_ieee_underflow 0
		.amdhsa_exception_fp_ieee_inexact 0
		.amdhsa_exception_int_div_zero 0
	.end_amdhsa_kernel
	.section	.text._ZN2ck16tensor_operation6device12_GLOBAL__N_137kernel_grouped_conv_fwd_dl_multiple_dINS_32GridwiseGemmDlMultipleD_km_kn_mnILi256EDF16_fNS_5TupleIJDF16_EEEDF16_NS0_12element_wise11PassThroughES8_NS7_7AddReluELNS_25InMemoryDataOperationEnumE0ENS_16TensorDescriptorINS5_IJNS_5EmbedINS5_IJiiiEEESD_Lb0EEENS_11PassThroughIiEENS_3PadIiiiLb0EEESG_SG_NSC_INS5_IJiiEEESJ_Lb0EEESG_NS_23Merge_v2_magic_divisionISJ_EESM_NS_8RightPadIiiLb0EEESO_NS_7UnMergeISJ_Lb0EEESG_EEENS5_IJNS_8SequenceIJLi0EEEENSS_IJLi1EEEENSS_IJLi2EEEENSS_IJLi3EEEENSS_IJLi4EEEENSS_IJLi5EEEENSS_IJLi6EEEENSS_IJLi7ELi9EEEENSS_IJLi8ELi10EEEENSS_IJLi11EEEENSS_IJLi12EEEENSS_IJLi14EEEENSS_IJLi13EEEEEEENS5_IJNSS_IJLi1ELi2ELi3EEEESX_SY_SZ_NSS_IJLi7EEEENSS_IJLi8ELi9EEEENSS_IJLi10EEEES12_S13_S15_S14_NSS_IJLi15ELi16EEEENSS_IJLi17EEEEEEENSS_IJLi15ELi17ELi16EEEElEENSB_INS5_IJSQ_SO_SO_SQ_SG_EEENS5_IJST_SU_SV_SX_SW_EEENS5_IJNSS_IJLi1ELi2EEEESW_SX_NSS_IJLi5ELi6EEEES18_EEENSS_IJLi5ELi7ELi6EEEElEENSB_INS5_IJSK_SO_SO_EEENS5_IJST_SU_SV_EEENS5_IJS1I_SW_SX_EEENSS_IJLi3ELi4EEEElEELi128ELi128ELi16ELi2ELi4ELi4ELi1ENSS_IJLi8ELi2EEEES1S_NSS_IJLi8ELi1ELi1ELi2EEEENSS_IJLi2ELi1ELi128ELi1EEEENSS_IJLi1ELi2ELi0ELi3EEEES1V_NSS_IJLi4ELi1ELi1ELi2EEEES1V_NSS_IJLi1ELi1ELi1ELi2EEEES1T_S1U_S1V_S1V_S1W_S1V_S1X_NSS_IJLi0ELi1ELi2ELi3ELi4ELi5EEEELi5ELi4EEEDF16_NS5_IJPKDF16_EEEDF16_S8_S8_S9_NSB_INS5_IJSE_SG_SI_SG_SG_SK_SG_SM_SM_SO_SO_SQ_SG_SG_NSP_INS5_IJiNS_17integral_constantIiLi128EEEEEELb0EEENSF_INS23_IiLi2EEEEEEEENS5_IJST_SU_SV_SW_SX_SY_SZ_S10_S11_S12_S13_S14_S15_NSS_IJLi15EEEES1C_NSS_IJLi16EEEEEEENS5_IJS17_SX_SY_SZ_S18_S19_S1A_S12_S13_S15_S14_S1B_S1C_NSS_IJLi18EEEENSS_IJLi19ELi20EEEENSS_IJLi21EEEEEEENSS_IJLi18ELi19ELi20ELi21EEEElEENSB_INS5_IJSQ_SO_SO_SQ_SG_SG_S26_S28_EEENS5_IJST_SU_SV_SX_SW_SY_S18_SZ_EEENS5_IJS1I_SW_SX_S1J_S18_NSS_IJLi8EEEENSS_IJLi9ELi10EEEES12_EEENSS_IJLi8ELi9ELi10ELi11EEEElEENS5_IJNSB_INS5_IJSK_SO_SO_NSP_INS5_IJiS27_NS23_IiLi64EEEEEELb0EEES2S_EEENS5_IJST_SU_SV_SW_SX_EEENS5_IJS1I_SW_SX_NSS_IJLi5ELi6ELi7EEEENSS_IJLi8ELi9ELi10EEEEEEENSS_IJLi5ELi6ELi7ELi8ELi9ELi10EEEElEEEEES2Z_NS_31BlockToCTileMap_M00_N00_M01_N01ILi128ELi128ES1R_Lb0EEENS1_30ComputePtrOffsetOfStridedBatchILi1ELi1ELi1EvEELb0ELb0EEEvPKT0_S37_T1_PT2_T3_T4_T5_iT6_T7_T8_T9_T10_T11_,"axG",@progbits,_ZN2ck16tensor_operation6device12_GLOBAL__N_137kernel_grouped_conv_fwd_dl_multiple_dINS_32GridwiseGemmDlMultipleD_km_kn_mnILi256EDF16_fNS_5TupleIJDF16_EEEDF16_NS0_12element_wise11PassThroughES8_NS7_7AddReluELNS_25InMemoryDataOperationEnumE0ENS_16TensorDescriptorINS5_IJNS_5EmbedINS5_IJiiiEEESD_Lb0EEENS_11PassThroughIiEENS_3PadIiiiLb0EEESG_SG_NSC_INS5_IJiiEEESJ_Lb0EEESG_NS_23Merge_v2_magic_divisionISJ_EESM_NS_8RightPadIiiLb0EEESO_NS_7UnMergeISJ_Lb0EEESG_EEENS5_IJNS_8SequenceIJLi0EEEENSS_IJLi1EEEENSS_IJLi2EEEENSS_IJLi3EEEENSS_IJLi4EEEENSS_IJLi5EEEENSS_IJLi6EEEENSS_IJLi7ELi9EEEENSS_IJLi8ELi10EEEENSS_IJLi11EEEENSS_IJLi12EEEENSS_IJLi14EEEENSS_IJLi13EEEEEEENS5_IJNSS_IJLi1ELi2ELi3EEEESX_SY_SZ_NSS_IJLi7EEEENSS_IJLi8ELi9EEEENSS_IJLi10EEEES12_S13_S15_S14_NSS_IJLi15ELi16EEEENSS_IJLi17EEEEEEENSS_IJLi15ELi17ELi16EEEElEENSB_INS5_IJSQ_SO_SO_SQ_SG_EEENS5_IJST_SU_SV_SX_SW_EEENS5_IJNSS_IJLi1ELi2EEEESW_SX_NSS_IJLi5ELi6EEEES18_EEENSS_IJLi5ELi7ELi6EEEElEENSB_INS5_IJSK_SO_SO_EEENS5_IJST_SU_SV_EEENS5_IJS1I_SW_SX_EEENSS_IJLi3ELi4EEEElEELi128ELi128ELi16ELi2ELi4ELi4ELi1ENSS_IJLi8ELi2EEEES1S_NSS_IJLi8ELi1ELi1ELi2EEEENSS_IJLi2ELi1ELi128ELi1EEEENSS_IJLi1ELi2ELi0ELi3EEEES1V_NSS_IJLi4ELi1ELi1ELi2EEEES1V_NSS_IJLi1ELi1ELi1ELi2EEEES1T_S1U_S1V_S1V_S1W_S1V_S1X_NSS_IJLi0ELi1ELi2ELi3ELi4ELi5EEEELi5ELi4EEEDF16_NS5_IJPKDF16_EEEDF16_S8_S8_S9_NSB_INS5_IJSE_SG_SI_SG_SG_SK_SG_SM_SM_SO_SO_SQ_SG_SG_NSP_INS5_IJiNS_17integral_constantIiLi128EEEEEELb0EEENSF_INS23_IiLi2EEEEEEEENS5_IJST_SU_SV_SW_SX_SY_SZ_S10_S11_S12_S13_S14_S15_NSS_IJLi15EEEES1C_NSS_IJLi16EEEEEEENS5_IJS17_SX_SY_SZ_S18_S19_S1A_S12_S13_S15_S14_S1B_S1C_NSS_IJLi18EEEENSS_IJLi19ELi20EEEENSS_IJLi21EEEEEEENSS_IJLi18ELi19ELi20ELi21EEEElEENSB_INS5_IJSQ_SO_SO_SQ_SG_SG_S26_S28_EEENS5_IJST_SU_SV_SX_SW_SY_S18_SZ_EEENS5_IJS1I_SW_SX_S1J_S18_NSS_IJLi8EEEENSS_IJLi9ELi10EEEES12_EEENSS_IJLi8ELi9ELi10ELi11EEEElEENS5_IJNSB_INS5_IJSK_SO_SO_NSP_INS5_IJiS27_NS23_IiLi64EEEEEELb0EEES2S_EEENS5_IJST_SU_SV_SW_SX_EEENS5_IJS1I_SW_SX_NSS_IJLi5ELi6ELi7EEEENSS_IJLi8ELi9ELi10EEEEEEENSS_IJLi5ELi6ELi7ELi8ELi9ELi10EEEElEEEEES2Z_NS_31BlockToCTileMap_M00_N00_M01_N01ILi128ELi128ES1R_Lb0EEENS1_30ComputePtrOffsetOfStridedBatchILi1ELi1ELi1EvEELb0ELb0EEEvPKT0_S37_T1_PT2_T3_T4_T5_iT6_T7_T8_T9_T10_T11_,comdat
.Lfunc_end4:
	.size	_ZN2ck16tensor_operation6device12_GLOBAL__N_137kernel_grouped_conv_fwd_dl_multiple_dINS_32GridwiseGemmDlMultipleD_km_kn_mnILi256EDF16_fNS_5TupleIJDF16_EEEDF16_NS0_12element_wise11PassThroughES8_NS7_7AddReluELNS_25InMemoryDataOperationEnumE0ENS_16TensorDescriptorINS5_IJNS_5EmbedINS5_IJiiiEEESD_Lb0EEENS_11PassThroughIiEENS_3PadIiiiLb0EEESG_SG_NSC_INS5_IJiiEEESJ_Lb0EEESG_NS_23Merge_v2_magic_divisionISJ_EESM_NS_8RightPadIiiLb0EEESO_NS_7UnMergeISJ_Lb0EEESG_EEENS5_IJNS_8SequenceIJLi0EEEENSS_IJLi1EEEENSS_IJLi2EEEENSS_IJLi3EEEENSS_IJLi4EEEENSS_IJLi5EEEENSS_IJLi6EEEENSS_IJLi7ELi9EEEENSS_IJLi8ELi10EEEENSS_IJLi11EEEENSS_IJLi12EEEENSS_IJLi14EEEENSS_IJLi13EEEEEEENS5_IJNSS_IJLi1ELi2ELi3EEEESX_SY_SZ_NSS_IJLi7EEEENSS_IJLi8ELi9EEEENSS_IJLi10EEEES12_S13_S15_S14_NSS_IJLi15ELi16EEEENSS_IJLi17EEEEEEENSS_IJLi15ELi17ELi16EEEElEENSB_INS5_IJSQ_SO_SO_SQ_SG_EEENS5_IJST_SU_SV_SX_SW_EEENS5_IJNSS_IJLi1ELi2EEEESW_SX_NSS_IJLi5ELi6EEEES18_EEENSS_IJLi5ELi7ELi6EEEElEENSB_INS5_IJSK_SO_SO_EEENS5_IJST_SU_SV_EEENS5_IJS1I_SW_SX_EEENSS_IJLi3ELi4EEEElEELi128ELi128ELi16ELi2ELi4ELi4ELi1ENSS_IJLi8ELi2EEEES1S_NSS_IJLi8ELi1ELi1ELi2EEEENSS_IJLi2ELi1ELi128ELi1EEEENSS_IJLi1ELi2ELi0ELi3EEEES1V_NSS_IJLi4ELi1ELi1ELi2EEEES1V_NSS_IJLi1ELi1ELi1ELi2EEEES1T_S1U_S1V_S1V_S1W_S1V_S1X_NSS_IJLi0ELi1ELi2ELi3ELi4ELi5EEEELi5ELi4EEEDF16_NS5_IJPKDF16_EEEDF16_S8_S8_S9_NSB_INS5_IJSE_SG_SI_SG_SG_SK_SG_SM_SM_SO_SO_SQ_SG_SG_NSP_INS5_IJiNS_17integral_constantIiLi128EEEEEELb0EEENSF_INS23_IiLi2EEEEEEEENS5_IJST_SU_SV_SW_SX_SY_SZ_S10_S11_S12_S13_S14_S15_NSS_IJLi15EEEES1C_NSS_IJLi16EEEEEEENS5_IJS17_SX_SY_SZ_S18_S19_S1A_S12_S13_S15_S14_S1B_S1C_NSS_IJLi18EEEENSS_IJLi19ELi20EEEENSS_IJLi21EEEEEEENSS_IJLi18ELi19ELi20ELi21EEEElEENSB_INS5_IJSQ_SO_SO_SQ_SG_SG_S26_S28_EEENS5_IJST_SU_SV_SX_SW_SY_S18_SZ_EEENS5_IJS1I_SW_SX_S1J_S18_NSS_IJLi8EEEENSS_IJLi9ELi10EEEES12_EEENSS_IJLi8ELi9ELi10ELi11EEEElEENS5_IJNSB_INS5_IJSK_SO_SO_NSP_INS5_IJiS27_NS23_IiLi64EEEEEELb0EEES2S_EEENS5_IJST_SU_SV_SW_SX_EEENS5_IJS1I_SW_SX_NSS_IJLi5ELi6ELi7EEEENSS_IJLi8ELi9ELi10EEEEEEENSS_IJLi5ELi6ELi7ELi8ELi9ELi10EEEElEEEEES2Z_NS_31BlockToCTileMap_M00_N00_M01_N01ILi128ELi128ES1R_Lb0EEENS1_30ComputePtrOffsetOfStridedBatchILi1ELi1ELi1EvEELb0ELb0EEEvPKT0_S37_T1_PT2_T3_T4_T5_iT6_T7_T8_T9_T10_T11_, .Lfunc_end4-_ZN2ck16tensor_operation6device12_GLOBAL__N_137kernel_grouped_conv_fwd_dl_multiple_dINS_32GridwiseGemmDlMultipleD_km_kn_mnILi256EDF16_fNS_5TupleIJDF16_EEEDF16_NS0_12element_wise11PassThroughES8_NS7_7AddReluELNS_25InMemoryDataOperationEnumE0ENS_16TensorDescriptorINS5_IJNS_5EmbedINS5_IJiiiEEESD_Lb0EEENS_11PassThroughIiEENS_3PadIiiiLb0EEESG_SG_NSC_INS5_IJiiEEESJ_Lb0EEESG_NS_23Merge_v2_magic_divisionISJ_EESM_NS_8RightPadIiiLb0EEESO_NS_7UnMergeISJ_Lb0EEESG_EEENS5_IJNS_8SequenceIJLi0EEEENSS_IJLi1EEEENSS_IJLi2EEEENSS_IJLi3EEEENSS_IJLi4EEEENSS_IJLi5EEEENSS_IJLi6EEEENSS_IJLi7ELi9EEEENSS_IJLi8ELi10EEEENSS_IJLi11EEEENSS_IJLi12EEEENSS_IJLi14EEEENSS_IJLi13EEEEEEENS5_IJNSS_IJLi1ELi2ELi3EEEESX_SY_SZ_NSS_IJLi7EEEENSS_IJLi8ELi9EEEENSS_IJLi10EEEES12_S13_S15_S14_NSS_IJLi15ELi16EEEENSS_IJLi17EEEEEEENSS_IJLi15ELi17ELi16EEEElEENSB_INS5_IJSQ_SO_SO_SQ_SG_EEENS5_IJST_SU_SV_SX_SW_EEENS5_IJNSS_IJLi1ELi2EEEESW_SX_NSS_IJLi5ELi6EEEES18_EEENSS_IJLi5ELi7ELi6EEEElEENSB_INS5_IJSK_SO_SO_EEENS5_IJST_SU_SV_EEENS5_IJS1I_SW_SX_EEENSS_IJLi3ELi4EEEElEELi128ELi128ELi16ELi2ELi4ELi4ELi1ENSS_IJLi8ELi2EEEES1S_NSS_IJLi8ELi1ELi1ELi2EEEENSS_IJLi2ELi1ELi128ELi1EEEENSS_IJLi1ELi2ELi0ELi3EEEES1V_NSS_IJLi4ELi1ELi1ELi2EEEES1V_NSS_IJLi1ELi1ELi1ELi2EEEES1T_S1U_S1V_S1V_S1W_S1V_S1X_NSS_IJLi0ELi1ELi2ELi3ELi4ELi5EEEELi5ELi4EEEDF16_NS5_IJPKDF16_EEEDF16_S8_S8_S9_NSB_INS5_IJSE_SG_SI_SG_SG_SK_SG_SM_SM_SO_SO_SQ_SG_SG_NSP_INS5_IJiNS_17integral_constantIiLi128EEEEEELb0EEENSF_INS23_IiLi2EEEEEEEENS5_IJST_SU_SV_SW_SX_SY_SZ_S10_S11_S12_S13_S14_S15_NSS_IJLi15EEEES1C_NSS_IJLi16EEEEEEENS5_IJS17_SX_SY_SZ_S18_S19_S1A_S12_S13_S15_S14_S1B_S1C_NSS_IJLi18EEEENSS_IJLi19ELi20EEEENSS_IJLi21EEEEEEENSS_IJLi18ELi19ELi20ELi21EEEElEENSB_INS5_IJSQ_SO_SO_SQ_SG_SG_S26_S28_EEENS5_IJST_SU_SV_SX_SW_SY_S18_SZ_EEENS5_IJS1I_SW_SX_S1J_S18_NSS_IJLi8EEEENSS_IJLi9ELi10EEEES12_EEENSS_IJLi8ELi9ELi10ELi11EEEElEENS5_IJNSB_INS5_IJSK_SO_SO_NSP_INS5_IJiS27_NS23_IiLi64EEEEEELb0EEES2S_EEENS5_IJST_SU_SV_SW_SX_EEENS5_IJS1I_SW_SX_NSS_IJLi5ELi6ELi7EEEENSS_IJLi8ELi9ELi10EEEEEEENSS_IJLi5ELi6ELi7ELi8ELi9ELi10EEEElEEEEES2Z_NS_31BlockToCTileMap_M00_N00_M01_N01ILi128ELi128ES1R_Lb0EEENS1_30ComputePtrOffsetOfStridedBatchILi1ELi1ELi1EvEELb0ELb0EEEvPKT0_S37_T1_PT2_T3_T4_T5_iT6_T7_T8_T9_T10_T11_
                                        ; -- End function
	.set _ZN2ck16tensor_operation6device12_GLOBAL__N_137kernel_grouped_conv_fwd_dl_multiple_dINS_32GridwiseGemmDlMultipleD_km_kn_mnILi256EDF16_fNS_5TupleIJDF16_EEEDF16_NS0_12element_wise11PassThroughES8_NS7_7AddReluELNS_25InMemoryDataOperationEnumE0ENS_16TensorDescriptorINS5_IJNS_5EmbedINS5_IJiiiEEESD_Lb0EEENS_11PassThroughIiEENS_3PadIiiiLb0EEESG_SG_NSC_INS5_IJiiEEESJ_Lb0EEESG_NS_23Merge_v2_magic_divisionISJ_EESM_NS_8RightPadIiiLb0EEESO_NS_7UnMergeISJ_Lb0EEESG_EEENS5_IJNS_8SequenceIJLi0EEEENSS_IJLi1EEEENSS_IJLi2EEEENSS_IJLi3EEEENSS_IJLi4EEEENSS_IJLi5EEEENSS_IJLi6EEEENSS_IJLi7ELi9EEEENSS_IJLi8ELi10EEEENSS_IJLi11EEEENSS_IJLi12EEEENSS_IJLi14EEEENSS_IJLi13EEEEEEENS5_IJNSS_IJLi1ELi2ELi3EEEESX_SY_SZ_NSS_IJLi7EEEENSS_IJLi8ELi9EEEENSS_IJLi10EEEES12_S13_S15_S14_NSS_IJLi15ELi16EEEENSS_IJLi17EEEEEEENSS_IJLi15ELi17ELi16EEEElEENSB_INS5_IJSQ_SO_SO_SQ_SG_EEENS5_IJST_SU_SV_SX_SW_EEENS5_IJNSS_IJLi1ELi2EEEESW_SX_NSS_IJLi5ELi6EEEES18_EEENSS_IJLi5ELi7ELi6EEEElEENSB_INS5_IJSK_SO_SO_EEENS5_IJST_SU_SV_EEENS5_IJS1I_SW_SX_EEENSS_IJLi3ELi4EEEElEELi128ELi128ELi16ELi2ELi4ELi4ELi1ENSS_IJLi8ELi2EEEES1S_NSS_IJLi8ELi1ELi1ELi2EEEENSS_IJLi2ELi1ELi128ELi1EEEENSS_IJLi1ELi2ELi0ELi3EEEES1V_NSS_IJLi4ELi1ELi1ELi2EEEES1V_NSS_IJLi1ELi1ELi1ELi2EEEES1T_S1U_S1V_S1V_S1W_S1V_S1X_NSS_IJLi0ELi1ELi2ELi3ELi4ELi5EEEELi5ELi4EEEDF16_NS5_IJPKDF16_EEEDF16_S8_S8_S9_NSB_INS5_IJSE_SG_SI_SG_SG_SK_SG_SM_SM_SO_SO_SQ_SG_SG_NSP_INS5_IJiNS_17integral_constantIiLi128EEEEEELb0EEENSF_INS23_IiLi2EEEEEEEENS5_IJST_SU_SV_SW_SX_SY_SZ_S10_S11_S12_S13_S14_S15_NSS_IJLi15EEEES1C_NSS_IJLi16EEEEEEENS5_IJS17_SX_SY_SZ_S18_S19_S1A_S12_S13_S15_S14_S1B_S1C_NSS_IJLi18EEEENSS_IJLi19ELi20EEEENSS_IJLi21EEEEEEENSS_IJLi18ELi19ELi20ELi21EEEElEENSB_INS5_IJSQ_SO_SO_SQ_SG_SG_S26_S28_EEENS5_IJST_SU_SV_SX_SW_SY_S18_SZ_EEENS5_IJS1I_SW_SX_S1J_S18_NSS_IJLi8EEEENSS_IJLi9ELi10EEEES12_EEENSS_IJLi8ELi9ELi10ELi11EEEElEENS5_IJNSB_INS5_IJSK_SO_SO_NSP_INS5_IJiS27_NS23_IiLi64EEEEEELb0EEES2S_EEENS5_IJST_SU_SV_SW_SX_EEENS5_IJS1I_SW_SX_NSS_IJLi5ELi6ELi7EEEENSS_IJLi8ELi9ELi10EEEEEEENSS_IJLi5ELi6ELi7ELi8ELi9ELi10EEEElEEEEES2Z_NS_31BlockToCTileMap_M00_N00_M01_N01ILi128ELi128ES1R_Lb0EEENS1_30ComputePtrOffsetOfStridedBatchILi1ELi1ELi1EvEELb0ELb0EEEvPKT0_S37_T1_PT2_T3_T4_T5_iT6_T7_T8_T9_T10_T11_.num_vgpr, 94
	.set _ZN2ck16tensor_operation6device12_GLOBAL__N_137kernel_grouped_conv_fwd_dl_multiple_dINS_32GridwiseGemmDlMultipleD_km_kn_mnILi256EDF16_fNS_5TupleIJDF16_EEEDF16_NS0_12element_wise11PassThroughES8_NS7_7AddReluELNS_25InMemoryDataOperationEnumE0ENS_16TensorDescriptorINS5_IJNS_5EmbedINS5_IJiiiEEESD_Lb0EEENS_11PassThroughIiEENS_3PadIiiiLb0EEESG_SG_NSC_INS5_IJiiEEESJ_Lb0EEESG_NS_23Merge_v2_magic_divisionISJ_EESM_NS_8RightPadIiiLb0EEESO_NS_7UnMergeISJ_Lb0EEESG_EEENS5_IJNS_8SequenceIJLi0EEEENSS_IJLi1EEEENSS_IJLi2EEEENSS_IJLi3EEEENSS_IJLi4EEEENSS_IJLi5EEEENSS_IJLi6EEEENSS_IJLi7ELi9EEEENSS_IJLi8ELi10EEEENSS_IJLi11EEEENSS_IJLi12EEEENSS_IJLi14EEEENSS_IJLi13EEEEEEENS5_IJNSS_IJLi1ELi2ELi3EEEESX_SY_SZ_NSS_IJLi7EEEENSS_IJLi8ELi9EEEENSS_IJLi10EEEES12_S13_S15_S14_NSS_IJLi15ELi16EEEENSS_IJLi17EEEEEEENSS_IJLi15ELi17ELi16EEEElEENSB_INS5_IJSQ_SO_SO_SQ_SG_EEENS5_IJST_SU_SV_SX_SW_EEENS5_IJNSS_IJLi1ELi2EEEESW_SX_NSS_IJLi5ELi6EEEES18_EEENSS_IJLi5ELi7ELi6EEEElEENSB_INS5_IJSK_SO_SO_EEENS5_IJST_SU_SV_EEENS5_IJS1I_SW_SX_EEENSS_IJLi3ELi4EEEElEELi128ELi128ELi16ELi2ELi4ELi4ELi1ENSS_IJLi8ELi2EEEES1S_NSS_IJLi8ELi1ELi1ELi2EEEENSS_IJLi2ELi1ELi128ELi1EEEENSS_IJLi1ELi2ELi0ELi3EEEES1V_NSS_IJLi4ELi1ELi1ELi2EEEES1V_NSS_IJLi1ELi1ELi1ELi2EEEES1T_S1U_S1V_S1V_S1W_S1V_S1X_NSS_IJLi0ELi1ELi2ELi3ELi4ELi5EEEELi5ELi4EEEDF16_NS5_IJPKDF16_EEEDF16_S8_S8_S9_NSB_INS5_IJSE_SG_SI_SG_SG_SK_SG_SM_SM_SO_SO_SQ_SG_SG_NSP_INS5_IJiNS_17integral_constantIiLi128EEEEEELb0EEENSF_INS23_IiLi2EEEEEEEENS5_IJST_SU_SV_SW_SX_SY_SZ_S10_S11_S12_S13_S14_S15_NSS_IJLi15EEEES1C_NSS_IJLi16EEEEEEENS5_IJS17_SX_SY_SZ_S18_S19_S1A_S12_S13_S15_S14_S1B_S1C_NSS_IJLi18EEEENSS_IJLi19ELi20EEEENSS_IJLi21EEEEEEENSS_IJLi18ELi19ELi20ELi21EEEElEENSB_INS5_IJSQ_SO_SO_SQ_SG_SG_S26_S28_EEENS5_IJST_SU_SV_SX_SW_SY_S18_SZ_EEENS5_IJS1I_SW_SX_S1J_S18_NSS_IJLi8EEEENSS_IJLi9ELi10EEEES12_EEENSS_IJLi8ELi9ELi10ELi11EEEElEENS5_IJNSB_INS5_IJSK_SO_SO_NSP_INS5_IJiS27_NS23_IiLi64EEEEEELb0EEES2S_EEENS5_IJST_SU_SV_SW_SX_EEENS5_IJS1I_SW_SX_NSS_IJLi5ELi6ELi7EEEENSS_IJLi8ELi9ELi10EEEEEEENSS_IJLi5ELi6ELi7ELi8ELi9ELi10EEEElEEEEES2Z_NS_31BlockToCTileMap_M00_N00_M01_N01ILi128ELi128ES1R_Lb0EEENS1_30ComputePtrOffsetOfStridedBatchILi1ELi1ELi1EvEELb0ELb0EEEvPKT0_S37_T1_PT2_T3_T4_T5_iT6_T7_T8_T9_T10_T11_.num_agpr, 0
	.set _ZN2ck16tensor_operation6device12_GLOBAL__N_137kernel_grouped_conv_fwd_dl_multiple_dINS_32GridwiseGemmDlMultipleD_km_kn_mnILi256EDF16_fNS_5TupleIJDF16_EEEDF16_NS0_12element_wise11PassThroughES8_NS7_7AddReluELNS_25InMemoryDataOperationEnumE0ENS_16TensorDescriptorINS5_IJNS_5EmbedINS5_IJiiiEEESD_Lb0EEENS_11PassThroughIiEENS_3PadIiiiLb0EEESG_SG_NSC_INS5_IJiiEEESJ_Lb0EEESG_NS_23Merge_v2_magic_divisionISJ_EESM_NS_8RightPadIiiLb0EEESO_NS_7UnMergeISJ_Lb0EEESG_EEENS5_IJNS_8SequenceIJLi0EEEENSS_IJLi1EEEENSS_IJLi2EEEENSS_IJLi3EEEENSS_IJLi4EEEENSS_IJLi5EEEENSS_IJLi6EEEENSS_IJLi7ELi9EEEENSS_IJLi8ELi10EEEENSS_IJLi11EEEENSS_IJLi12EEEENSS_IJLi14EEEENSS_IJLi13EEEEEEENS5_IJNSS_IJLi1ELi2ELi3EEEESX_SY_SZ_NSS_IJLi7EEEENSS_IJLi8ELi9EEEENSS_IJLi10EEEES12_S13_S15_S14_NSS_IJLi15ELi16EEEENSS_IJLi17EEEEEEENSS_IJLi15ELi17ELi16EEEElEENSB_INS5_IJSQ_SO_SO_SQ_SG_EEENS5_IJST_SU_SV_SX_SW_EEENS5_IJNSS_IJLi1ELi2EEEESW_SX_NSS_IJLi5ELi6EEEES18_EEENSS_IJLi5ELi7ELi6EEEElEENSB_INS5_IJSK_SO_SO_EEENS5_IJST_SU_SV_EEENS5_IJS1I_SW_SX_EEENSS_IJLi3ELi4EEEElEELi128ELi128ELi16ELi2ELi4ELi4ELi1ENSS_IJLi8ELi2EEEES1S_NSS_IJLi8ELi1ELi1ELi2EEEENSS_IJLi2ELi1ELi128ELi1EEEENSS_IJLi1ELi2ELi0ELi3EEEES1V_NSS_IJLi4ELi1ELi1ELi2EEEES1V_NSS_IJLi1ELi1ELi1ELi2EEEES1T_S1U_S1V_S1V_S1W_S1V_S1X_NSS_IJLi0ELi1ELi2ELi3ELi4ELi5EEEELi5ELi4EEEDF16_NS5_IJPKDF16_EEEDF16_S8_S8_S9_NSB_INS5_IJSE_SG_SI_SG_SG_SK_SG_SM_SM_SO_SO_SQ_SG_SG_NSP_INS5_IJiNS_17integral_constantIiLi128EEEEEELb0EEENSF_INS23_IiLi2EEEEEEEENS5_IJST_SU_SV_SW_SX_SY_SZ_S10_S11_S12_S13_S14_S15_NSS_IJLi15EEEES1C_NSS_IJLi16EEEEEEENS5_IJS17_SX_SY_SZ_S18_S19_S1A_S12_S13_S15_S14_S1B_S1C_NSS_IJLi18EEEENSS_IJLi19ELi20EEEENSS_IJLi21EEEEEEENSS_IJLi18ELi19ELi20ELi21EEEElEENSB_INS5_IJSQ_SO_SO_SQ_SG_SG_S26_S28_EEENS5_IJST_SU_SV_SX_SW_SY_S18_SZ_EEENS5_IJS1I_SW_SX_S1J_S18_NSS_IJLi8EEEENSS_IJLi9ELi10EEEES12_EEENSS_IJLi8ELi9ELi10ELi11EEEElEENS5_IJNSB_INS5_IJSK_SO_SO_NSP_INS5_IJiS27_NS23_IiLi64EEEEEELb0EEES2S_EEENS5_IJST_SU_SV_SW_SX_EEENS5_IJS1I_SW_SX_NSS_IJLi5ELi6ELi7EEEENSS_IJLi8ELi9ELi10EEEEEEENSS_IJLi5ELi6ELi7ELi8ELi9ELi10EEEElEEEEES2Z_NS_31BlockToCTileMap_M00_N00_M01_N01ILi128ELi128ES1R_Lb0EEENS1_30ComputePtrOffsetOfStridedBatchILi1ELi1ELi1EvEELb0ELb0EEEvPKT0_S37_T1_PT2_T3_T4_T5_iT6_T7_T8_T9_T10_T11_.numbered_sgpr, 65
	.set _ZN2ck16tensor_operation6device12_GLOBAL__N_137kernel_grouped_conv_fwd_dl_multiple_dINS_32GridwiseGemmDlMultipleD_km_kn_mnILi256EDF16_fNS_5TupleIJDF16_EEEDF16_NS0_12element_wise11PassThroughES8_NS7_7AddReluELNS_25InMemoryDataOperationEnumE0ENS_16TensorDescriptorINS5_IJNS_5EmbedINS5_IJiiiEEESD_Lb0EEENS_11PassThroughIiEENS_3PadIiiiLb0EEESG_SG_NSC_INS5_IJiiEEESJ_Lb0EEESG_NS_23Merge_v2_magic_divisionISJ_EESM_NS_8RightPadIiiLb0EEESO_NS_7UnMergeISJ_Lb0EEESG_EEENS5_IJNS_8SequenceIJLi0EEEENSS_IJLi1EEEENSS_IJLi2EEEENSS_IJLi3EEEENSS_IJLi4EEEENSS_IJLi5EEEENSS_IJLi6EEEENSS_IJLi7ELi9EEEENSS_IJLi8ELi10EEEENSS_IJLi11EEEENSS_IJLi12EEEENSS_IJLi14EEEENSS_IJLi13EEEEEEENS5_IJNSS_IJLi1ELi2ELi3EEEESX_SY_SZ_NSS_IJLi7EEEENSS_IJLi8ELi9EEEENSS_IJLi10EEEES12_S13_S15_S14_NSS_IJLi15ELi16EEEENSS_IJLi17EEEEEEENSS_IJLi15ELi17ELi16EEEElEENSB_INS5_IJSQ_SO_SO_SQ_SG_EEENS5_IJST_SU_SV_SX_SW_EEENS5_IJNSS_IJLi1ELi2EEEESW_SX_NSS_IJLi5ELi6EEEES18_EEENSS_IJLi5ELi7ELi6EEEElEENSB_INS5_IJSK_SO_SO_EEENS5_IJST_SU_SV_EEENS5_IJS1I_SW_SX_EEENSS_IJLi3ELi4EEEElEELi128ELi128ELi16ELi2ELi4ELi4ELi1ENSS_IJLi8ELi2EEEES1S_NSS_IJLi8ELi1ELi1ELi2EEEENSS_IJLi2ELi1ELi128ELi1EEEENSS_IJLi1ELi2ELi0ELi3EEEES1V_NSS_IJLi4ELi1ELi1ELi2EEEES1V_NSS_IJLi1ELi1ELi1ELi2EEEES1T_S1U_S1V_S1V_S1W_S1V_S1X_NSS_IJLi0ELi1ELi2ELi3ELi4ELi5EEEELi5ELi4EEEDF16_NS5_IJPKDF16_EEEDF16_S8_S8_S9_NSB_INS5_IJSE_SG_SI_SG_SG_SK_SG_SM_SM_SO_SO_SQ_SG_SG_NSP_INS5_IJiNS_17integral_constantIiLi128EEEEEELb0EEENSF_INS23_IiLi2EEEEEEEENS5_IJST_SU_SV_SW_SX_SY_SZ_S10_S11_S12_S13_S14_S15_NSS_IJLi15EEEES1C_NSS_IJLi16EEEEEEENS5_IJS17_SX_SY_SZ_S18_S19_S1A_S12_S13_S15_S14_S1B_S1C_NSS_IJLi18EEEENSS_IJLi19ELi20EEEENSS_IJLi21EEEEEEENSS_IJLi18ELi19ELi20ELi21EEEElEENSB_INS5_IJSQ_SO_SO_SQ_SG_SG_S26_S28_EEENS5_IJST_SU_SV_SX_SW_SY_S18_SZ_EEENS5_IJS1I_SW_SX_S1J_S18_NSS_IJLi8EEEENSS_IJLi9ELi10EEEES12_EEENSS_IJLi8ELi9ELi10ELi11EEEElEENS5_IJNSB_INS5_IJSK_SO_SO_NSP_INS5_IJiS27_NS23_IiLi64EEEEEELb0EEES2S_EEENS5_IJST_SU_SV_SW_SX_EEENS5_IJS1I_SW_SX_NSS_IJLi5ELi6ELi7EEEENSS_IJLi8ELi9ELi10EEEEEEENSS_IJLi5ELi6ELi7ELi8ELi9ELi10EEEElEEEEES2Z_NS_31BlockToCTileMap_M00_N00_M01_N01ILi128ELi128ES1R_Lb0EEENS1_30ComputePtrOffsetOfStridedBatchILi1ELi1ELi1EvEELb0ELb0EEEvPKT0_S37_T1_PT2_T3_T4_T5_iT6_T7_T8_T9_T10_T11_.num_named_barrier, 0
	.set _ZN2ck16tensor_operation6device12_GLOBAL__N_137kernel_grouped_conv_fwd_dl_multiple_dINS_32GridwiseGemmDlMultipleD_km_kn_mnILi256EDF16_fNS_5TupleIJDF16_EEEDF16_NS0_12element_wise11PassThroughES8_NS7_7AddReluELNS_25InMemoryDataOperationEnumE0ENS_16TensorDescriptorINS5_IJNS_5EmbedINS5_IJiiiEEESD_Lb0EEENS_11PassThroughIiEENS_3PadIiiiLb0EEESG_SG_NSC_INS5_IJiiEEESJ_Lb0EEESG_NS_23Merge_v2_magic_divisionISJ_EESM_NS_8RightPadIiiLb0EEESO_NS_7UnMergeISJ_Lb0EEESG_EEENS5_IJNS_8SequenceIJLi0EEEENSS_IJLi1EEEENSS_IJLi2EEEENSS_IJLi3EEEENSS_IJLi4EEEENSS_IJLi5EEEENSS_IJLi6EEEENSS_IJLi7ELi9EEEENSS_IJLi8ELi10EEEENSS_IJLi11EEEENSS_IJLi12EEEENSS_IJLi14EEEENSS_IJLi13EEEEEEENS5_IJNSS_IJLi1ELi2ELi3EEEESX_SY_SZ_NSS_IJLi7EEEENSS_IJLi8ELi9EEEENSS_IJLi10EEEES12_S13_S15_S14_NSS_IJLi15ELi16EEEENSS_IJLi17EEEEEEENSS_IJLi15ELi17ELi16EEEElEENSB_INS5_IJSQ_SO_SO_SQ_SG_EEENS5_IJST_SU_SV_SX_SW_EEENS5_IJNSS_IJLi1ELi2EEEESW_SX_NSS_IJLi5ELi6EEEES18_EEENSS_IJLi5ELi7ELi6EEEElEENSB_INS5_IJSK_SO_SO_EEENS5_IJST_SU_SV_EEENS5_IJS1I_SW_SX_EEENSS_IJLi3ELi4EEEElEELi128ELi128ELi16ELi2ELi4ELi4ELi1ENSS_IJLi8ELi2EEEES1S_NSS_IJLi8ELi1ELi1ELi2EEEENSS_IJLi2ELi1ELi128ELi1EEEENSS_IJLi1ELi2ELi0ELi3EEEES1V_NSS_IJLi4ELi1ELi1ELi2EEEES1V_NSS_IJLi1ELi1ELi1ELi2EEEES1T_S1U_S1V_S1V_S1W_S1V_S1X_NSS_IJLi0ELi1ELi2ELi3ELi4ELi5EEEELi5ELi4EEEDF16_NS5_IJPKDF16_EEEDF16_S8_S8_S9_NSB_INS5_IJSE_SG_SI_SG_SG_SK_SG_SM_SM_SO_SO_SQ_SG_SG_NSP_INS5_IJiNS_17integral_constantIiLi128EEEEEELb0EEENSF_INS23_IiLi2EEEEEEEENS5_IJST_SU_SV_SW_SX_SY_SZ_S10_S11_S12_S13_S14_S15_NSS_IJLi15EEEES1C_NSS_IJLi16EEEEEEENS5_IJS17_SX_SY_SZ_S18_S19_S1A_S12_S13_S15_S14_S1B_S1C_NSS_IJLi18EEEENSS_IJLi19ELi20EEEENSS_IJLi21EEEEEEENSS_IJLi18ELi19ELi20ELi21EEEElEENSB_INS5_IJSQ_SO_SO_SQ_SG_SG_S26_S28_EEENS5_IJST_SU_SV_SX_SW_SY_S18_SZ_EEENS5_IJS1I_SW_SX_S1J_S18_NSS_IJLi8EEEENSS_IJLi9ELi10EEEES12_EEENSS_IJLi8ELi9ELi10ELi11EEEElEENS5_IJNSB_INS5_IJSK_SO_SO_NSP_INS5_IJiS27_NS23_IiLi64EEEEEELb0EEES2S_EEENS5_IJST_SU_SV_SW_SX_EEENS5_IJS1I_SW_SX_NSS_IJLi5ELi6ELi7EEEENSS_IJLi8ELi9ELi10EEEEEEENSS_IJLi5ELi6ELi7ELi8ELi9ELi10EEEElEEEEES2Z_NS_31BlockToCTileMap_M00_N00_M01_N01ILi128ELi128ES1R_Lb0EEENS1_30ComputePtrOffsetOfStridedBatchILi1ELi1ELi1EvEELb0ELb0EEEvPKT0_S37_T1_PT2_T3_T4_T5_iT6_T7_T8_T9_T10_T11_.private_seg_size, 0
	.set _ZN2ck16tensor_operation6device12_GLOBAL__N_137kernel_grouped_conv_fwd_dl_multiple_dINS_32GridwiseGemmDlMultipleD_km_kn_mnILi256EDF16_fNS_5TupleIJDF16_EEEDF16_NS0_12element_wise11PassThroughES8_NS7_7AddReluELNS_25InMemoryDataOperationEnumE0ENS_16TensorDescriptorINS5_IJNS_5EmbedINS5_IJiiiEEESD_Lb0EEENS_11PassThroughIiEENS_3PadIiiiLb0EEESG_SG_NSC_INS5_IJiiEEESJ_Lb0EEESG_NS_23Merge_v2_magic_divisionISJ_EESM_NS_8RightPadIiiLb0EEESO_NS_7UnMergeISJ_Lb0EEESG_EEENS5_IJNS_8SequenceIJLi0EEEENSS_IJLi1EEEENSS_IJLi2EEEENSS_IJLi3EEEENSS_IJLi4EEEENSS_IJLi5EEEENSS_IJLi6EEEENSS_IJLi7ELi9EEEENSS_IJLi8ELi10EEEENSS_IJLi11EEEENSS_IJLi12EEEENSS_IJLi14EEEENSS_IJLi13EEEEEEENS5_IJNSS_IJLi1ELi2ELi3EEEESX_SY_SZ_NSS_IJLi7EEEENSS_IJLi8ELi9EEEENSS_IJLi10EEEES12_S13_S15_S14_NSS_IJLi15ELi16EEEENSS_IJLi17EEEEEEENSS_IJLi15ELi17ELi16EEEElEENSB_INS5_IJSQ_SO_SO_SQ_SG_EEENS5_IJST_SU_SV_SX_SW_EEENS5_IJNSS_IJLi1ELi2EEEESW_SX_NSS_IJLi5ELi6EEEES18_EEENSS_IJLi5ELi7ELi6EEEElEENSB_INS5_IJSK_SO_SO_EEENS5_IJST_SU_SV_EEENS5_IJS1I_SW_SX_EEENSS_IJLi3ELi4EEEElEELi128ELi128ELi16ELi2ELi4ELi4ELi1ENSS_IJLi8ELi2EEEES1S_NSS_IJLi8ELi1ELi1ELi2EEEENSS_IJLi2ELi1ELi128ELi1EEEENSS_IJLi1ELi2ELi0ELi3EEEES1V_NSS_IJLi4ELi1ELi1ELi2EEEES1V_NSS_IJLi1ELi1ELi1ELi2EEEES1T_S1U_S1V_S1V_S1W_S1V_S1X_NSS_IJLi0ELi1ELi2ELi3ELi4ELi5EEEELi5ELi4EEEDF16_NS5_IJPKDF16_EEEDF16_S8_S8_S9_NSB_INS5_IJSE_SG_SI_SG_SG_SK_SG_SM_SM_SO_SO_SQ_SG_SG_NSP_INS5_IJiNS_17integral_constantIiLi128EEEEEELb0EEENSF_INS23_IiLi2EEEEEEEENS5_IJST_SU_SV_SW_SX_SY_SZ_S10_S11_S12_S13_S14_S15_NSS_IJLi15EEEES1C_NSS_IJLi16EEEEEEENS5_IJS17_SX_SY_SZ_S18_S19_S1A_S12_S13_S15_S14_S1B_S1C_NSS_IJLi18EEEENSS_IJLi19ELi20EEEENSS_IJLi21EEEEEEENSS_IJLi18ELi19ELi20ELi21EEEElEENSB_INS5_IJSQ_SO_SO_SQ_SG_SG_S26_S28_EEENS5_IJST_SU_SV_SX_SW_SY_S18_SZ_EEENS5_IJS1I_SW_SX_S1J_S18_NSS_IJLi8EEEENSS_IJLi9ELi10EEEES12_EEENSS_IJLi8ELi9ELi10ELi11EEEElEENS5_IJNSB_INS5_IJSK_SO_SO_NSP_INS5_IJiS27_NS23_IiLi64EEEEEELb0EEES2S_EEENS5_IJST_SU_SV_SW_SX_EEENS5_IJS1I_SW_SX_NSS_IJLi5ELi6ELi7EEEENSS_IJLi8ELi9ELi10EEEEEEENSS_IJLi5ELi6ELi7ELi8ELi9ELi10EEEElEEEEES2Z_NS_31BlockToCTileMap_M00_N00_M01_N01ILi128ELi128ES1R_Lb0EEENS1_30ComputePtrOffsetOfStridedBatchILi1ELi1ELi1EvEELb0ELb0EEEvPKT0_S37_T1_PT2_T3_T4_T5_iT6_T7_T8_T9_T10_T11_.uses_vcc, 1
	.set _ZN2ck16tensor_operation6device12_GLOBAL__N_137kernel_grouped_conv_fwd_dl_multiple_dINS_32GridwiseGemmDlMultipleD_km_kn_mnILi256EDF16_fNS_5TupleIJDF16_EEEDF16_NS0_12element_wise11PassThroughES8_NS7_7AddReluELNS_25InMemoryDataOperationEnumE0ENS_16TensorDescriptorINS5_IJNS_5EmbedINS5_IJiiiEEESD_Lb0EEENS_11PassThroughIiEENS_3PadIiiiLb0EEESG_SG_NSC_INS5_IJiiEEESJ_Lb0EEESG_NS_23Merge_v2_magic_divisionISJ_EESM_NS_8RightPadIiiLb0EEESO_NS_7UnMergeISJ_Lb0EEESG_EEENS5_IJNS_8SequenceIJLi0EEEENSS_IJLi1EEEENSS_IJLi2EEEENSS_IJLi3EEEENSS_IJLi4EEEENSS_IJLi5EEEENSS_IJLi6EEEENSS_IJLi7ELi9EEEENSS_IJLi8ELi10EEEENSS_IJLi11EEEENSS_IJLi12EEEENSS_IJLi14EEEENSS_IJLi13EEEEEEENS5_IJNSS_IJLi1ELi2ELi3EEEESX_SY_SZ_NSS_IJLi7EEEENSS_IJLi8ELi9EEEENSS_IJLi10EEEES12_S13_S15_S14_NSS_IJLi15ELi16EEEENSS_IJLi17EEEEEEENSS_IJLi15ELi17ELi16EEEElEENSB_INS5_IJSQ_SO_SO_SQ_SG_EEENS5_IJST_SU_SV_SX_SW_EEENS5_IJNSS_IJLi1ELi2EEEESW_SX_NSS_IJLi5ELi6EEEES18_EEENSS_IJLi5ELi7ELi6EEEElEENSB_INS5_IJSK_SO_SO_EEENS5_IJST_SU_SV_EEENS5_IJS1I_SW_SX_EEENSS_IJLi3ELi4EEEElEELi128ELi128ELi16ELi2ELi4ELi4ELi1ENSS_IJLi8ELi2EEEES1S_NSS_IJLi8ELi1ELi1ELi2EEEENSS_IJLi2ELi1ELi128ELi1EEEENSS_IJLi1ELi2ELi0ELi3EEEES1V_NSS_IJLi4ELi1ELi1ELi2EEEES1V_NSS_IJLi1ELi1ELi1ELi2EEEES1T_S1U_S1V_S1V_S1W_S1V_S1X_NSS_IJLi0ELi1ELi2ELi3ELi4ELi5EEEELi5ELi4EEEDF16_NS5_IJPKDF16_EEEDF16_S8_S8_S9_NSB_INS5_IJSE_SG_SI_SG_SG_SK_SG_SM_SM_SO_SO_SQ_SG_SG_NSP_INS5_IJiNS_17integral_constantIiLi128EEEEEELb0EEENSF_INS23_IiLi2EEEEEEEENS5_IJST_SU_SV_SW_SX_SY_SZ_S10_S11_S12_S13_S14_S15_NSS_IJLi15EEEES1C_NSS_IJLi16EEEEEEENS5_IJS17_SX_SY_SZ_S18_S19_S1A_S12_S13_S15_S14_S1B_S1C_NSS_IJLi18EEEENSS_IJLi19ELi20EEEENSS_IJLi21EEEEEEENSS_IJLi18ELi19ELi20ELi21EEEElEENSB_INS5_IJSQ_SO_SO_SQ_SG_SG_S26_S28_EEENS5_IJST_SU_SV_SX_SW_SY_S18_SZ_EEENS5_IJS1I_SW_SX_S1J_S18_NSS_IJLi8EEEENSS_IJLi9ELi10EEEES12_EEENSS_IJLi8ELi9ELi10ELi11EEEElEENS5_IJNSB_INS5_IJSK_SO_SO_NSP_INS5_IJiS27_NS23_IiLi64EEEEEELb0EEES2S_EEENS5_IJST_SU_SV_SW_SX_EEENS5_IJS1I_SW_SX_NSS_IJLi5ELi6ELi7EEEENSS_IJLi8ELi9ELi10EEEEEEENSS_IJLi5ELi6ELi7ELi8ELi9ELi10EEEElEEEEES2Z_NS_31BlockToCTileMap_M00_N00_M01_N01ILi128ELi128ES1R_Lb0EEENS1_30ComputePtrOffsetOfStridedBatchILi1ELi1ELi1EvEELb0ELb0EEEvPKT0_S37_T1_PT2_T3_T4_T5_iT6_T7_T8_T9_T10_T11_.uses_flat_scratch, 0
	.set _ZN2ck16tensor_operation6device12_GLOBAL__N_137kernel_grouped_conv_fwd_dl_multiple_dINS_32GridwiseGemmDlMultipleD_km_kn_mnILi256EDF16_fNS_5TupleIJDF16_EEEDF16_NS0_12element_wise11PassThroughES8_NS7_7AddReluELNS_25InMemoryDataOperationEnumE0ENS_16TensorDescriptorINS5_IJNS_5EmbedINS5_IJiiiEEESD_Lb0EEENS_11PassThroughIiEENS_3PadIiiiLb0EEESG_SG_NSC_INS5_IJiiEEESJ_Lb0EEESG_NS_23Merge_v2_magic_divisionISJ_EESM_NS_8RightPadIiiLb0EEESO_NS_7UnMergeISJ_Lb0EEESG_EEENS5_IJNS_8SequenceIJLi0EEEENSS_IJLi1EEEENSS_IJLi2EEEENSS_IJLi3EEEENSS_IJLi4EEEENSS_IJLi5EEEENSS_IJLi6EEEENSS_IJLi7ELi9EEEENSS_IJLi8ELi10EEEENSS_IJLi11EEEENSS_IJLi12EEEENSS_IJLi14EEEENSS_IJLi13EEEEEEENS5_IJNSS_IJLi1ELi2ELi3EEEESX_SY_SZ_NSS_IJLi7EEEENSS_IJLi8ELi9EEEENSS_IJLi10EEEES12_S13_S15_S14_NSS_IJLi15ELi16EEEENSS_IJLi17EEEEEEENSS_IJLi15ELi17ELi16EEEElEENSB_INS5_IJSQ_SO_SO_SQ_SG_EEENS5_IJST_SU_SV_SX_SW_EEENS5_IJNSS_IJLi1ELi2EEEESW_SX_NSS_IJLi5ELi6EEEES18_EEENSS_IJLi5ELi7ELi6EEEElEENSB_INS5_IJSK_SO_SO_EEENS5_IJST_SU_SV_EEENS5_IJS1I_SW_SX_EEENSS_IJLi3ELi4EEEElEELi128ELi128ELi16ELi2ELi4ELi4ELi1ENSS_IJLi8ELi2EEEES1S_NSS_IJLi8ELi1ELi1ELi2EEEENSS_IJLi2ELi1ELi128ELi1EEEENSS_IJLi1ELi2ELi0ELi3EEEES1V_NSS_IJLi4ELi1ELi1ELi2EEEES1V_NSS_IJLi1ELi1ELi1ELi2EEEES1T_S1U_S1V_S1V_S1W_S1V_S1X_NSS_IJLi0ELi1ELi2ELi3ELi4ELi5EEEELi5ELi4EEEDF16_NS5_IJPKDF16_EEEDF16_S8_S8_S9_NSB_INS5_IJSE_SG_SI_SG_SG_SK_SG_SM_SM_SO_SO_SQ_SG_SG_NSP_INS5_IJiNS_17integral_constantIiLi128EEEEEELb0EEENSF_INS23_IiLi2EEEEEEEENS5_IJST_SU_SV_SW_SX_SY_SZ_S10_S11_S12_S13_S14_S15_NSS_IJLi15EEEES1C_NSS_IJLi16EEEEEEENS5_IJS17_SX_SY_SZ_S18_S19_S1A_S12_S13_S15_S14_S1B_S1C_NSS_IJLi18EEEENSS_IJLi19ELi20EEEENSS_IJLi21EEEEEEENSS_IJLi18ELi19ELi20ELi21EEEElEENSB_INS5_IJSQ_SO_SO_SQ_SG_SG_S26_S28_EEENS5_IJST_SU_SV_SX_SW_SY_S18_SZ_EEENS5_IJS1I_SW_SX_S1J_S18_NSS_IJLi8EEEENSS_IJLi9ELi10EEEES12_EEENSS_IJLi8ELi9ELi10ELi11EEEElEENS5_IJNSB_INS5_IJSK_SO_SO_NSP_INS5_IJiS27_NS23_IiLi64EEEEEELb0EEES2S_EEENS5_IJST_SU_SV_SW_SX_EEENS5_IJS1I_SW_SX_NSS_IJLi5ELi6ELi7EEEENSS_IJLi8ELi9ELi10EEEEEEENSS_IJLi5ELi6ELi7ELi8ELi9ELi10EEEElEEEEES2Z_NS_31BlockToCTileMap_M00_N00_M01_N01ILi128ELi128ES1R_Lb0EEENS1_30ComputePtrOffsetOfStridedBatchILi1ELi1ELi1EvEELb0ELb0EEEvPKT0_S37_T1_PT2_T3_T4_T5_iT6_T7_T8_T9_T10_T11_.has_dyn_sized_stack, 0
	.set _ZN2ck16tensor_operation6device12_GLOBAL__N_137kernel_grouped_conv_fwd_dl_multiple_dINS_32GridwiseGemmDlMultipleD_km_kn_mnILi256EDF16_fNS_5TupleIJDF16_EEEDF16_NS0_12element_wise11PassThroughES8_NS7_7AddReluELNS_25InMemoryDataOperationEnumE0ENS_16TensorDescriptorINS5_IJNS_5EmbedINS5_IJiiiEEESD_Lb0EEENS_11PassThroughIiEENS_3PadIiiiLb0EEESG_SG_NSC_INS5_IJiiEEESJ_Lb0EEESG_NS_23Merge_v2_magic_divisionISJ_EESM_NS_8RightPadIiiLb0EEESO_NS_7UnMergeISJ_Lb0EEESG_EEENS5_IJNS_8SequenceIJLi0EEEENSS_IJLi1EEEENSS_IJLi2EEEENSS_IJLi3EEEENSS_IJLi4EEEENSS_IJLi5EEEENSS_IJLi6EEEENSS_IJLi7ELi9EEEENSS_IJLi8ELi10EEEENSS_IJLi11EEEENSS_IJLi12EEEENSS_IJLi14EEEENSS_IJLi13EEEEEEENS5_IJNSS_IJLi1ELi2ELi3EEEESX_SY_SZ_NSS_IJLi7EEEENSS_IJLi8ELi9EEEENSS_IJLi10EEEES12_S13_S15_S14_NSS_IJLi15ELi16EEEENSS_IJLi17EEEEEEENSS_IJLi15ELi17ELi16EEEElEENSB_INS5_IJSQ_SO_SO_SQ_SG_EEENS5_IJST_SU_SV_SX_SW_EEENS5_IJNSS_IJLi1ELi2EEEESW_SX_NSS_IJLi5ELi6EEEES18_EEENSS_IJLi5ELi7ELi6EEEElEENSB_INS5_IJSK_SO_SO_EEENS5_IJST_SU_SV_EEENS5_IJS1I_SW_SX_EEENSS_IJLi3ELi4EEEElEELi128ELi128ELi16ELi2ELi4ELi4ELi1ENSS_IJLi8ELi2EEEES1S_NSS_IJLi8ELi1ELi1ELi2EEEENSS_IJLi2ELi1ELi128ELi1EEEENSS_IJLi1ELi2ELi0ELi3EEEES1V_NSS_IJLi4ELi1ELi1ELi2EEEES1V_NSS_IJLi1ELi1ELi1ELi2EEEES1T_S1U_S1V_S1V_S1W_S1V_S1X_NSS_IJLi0ELi1ELi2ELi3ELi4ELi5EEEELi5ELi4EEEDF16_NS5_IJPKDF16_EEEDF16_S8_S8_S9_NSB_INS5_IJSE_SG_SI_SG_SG_SK_SG_SM_SM_SO_SO_SQ_SG_SG_NSP_INS5_IJiNS_17integral_constantIiLi128EEEEEELb0EEENSF_INS23_IiLi2EEEEEEEENS5_IJST_SU_SV_SW_SX_SY_SZ_S10_S11_S12_S13_S14_S15_NSS_IJLi15EEEES1C_NSS_IJLi16EEEEEEENS5_IJS17_SX_SY_SZ_S18_S19_S1A_S12_S13_S15_S14_S1B_S1C_NSS_IJLi18EEEENSS_IJLi19ELi20EEEENSS_IJLi21EEEEEEENSS_IJLi18ELi19ELi20ELi21EEEElEENSB_INS5_IJSQ_SO_SO_SQ_SG_SG_S26_S28_EEENS5_IJST_SU_SV_SX_SW_SY_S18_SZ_EEENS5_IJS1I_SW_SX_S1J_S18_NSS_IJLi8EEEENSS_IJLi9ELi10EEEES12_EEENSS_IJLi8ELi9ELi10ELi11EEEElEENS5_IJNSB_INS5_IJSK_SO_SO_NSP_INS5_IJiS27_NS23_IiLi64EEEEEELb0EEES2S_EEENS5_IJST_SU_SV_SW_SX_EEENS5_IJS1I_SW_SX_NSS_IJLi5ELi6ELi7EEEENSS_IJLi8ELi9ELi10EEEEEEENSS_IJLi5ELi6ELi7ELi8ELi9ELi10EEEElEEEEES2Z_NS_31BlockToCTileMap_M00_N00_M01_N01ILi128ELi128ES1R_Lb0EEENS1_30ComputePtrOffsetOfStridedBatchILi1ELi1ELi1EvEELb0ELb0EEEvPKT0_S37_T1_PT2_T3_T4_T5_iT6_T7_T8_T9_T10_T11_.has_recursion, 0
	.set _ZN2ck16tensor_operation6device12_GLOBAL__N_137kernel_grouped_conv_fwd_dl_multiple_dINS_32GridwiseGemmDlMultipleD_km_kn_mnILi256EDF16_fNS_5TupleIJDF16_EEEDF16_NS0_12element_wise11PassThroughES8_NS7_7AddReluELNS_25InMemoryDataOperationEnumE0ENS_16TensorDescriptorINS5_IJNS_5EmbedINS5_IJiiiEEESD_Lb0EEENS_11PassThroughIiEENS_3PadIiiiLb0EEESG_SG_NSC_INS5_IJiiEEESJ_Lb0EEESG_NS_23Merge_v2_magic_divisionISJ_EESM_NS_8RightPadIiiLb0EEESO_NS_7UnMergeISJ_Lb0EEESG_EEENS5_IJNS_8SequenceIJLi0EEEENSS_IJLi1EEEENSS_IJLi2EEEENSS_IJLi3EEEENSS_IJLi4EEEENSS_IJLi5EEEENSS_IJLi6EEEENSS_IJLi7ELi9EEEENSS_IJLi8ELi10EEEENSS_IJLi11EEEENSS_IJLi12EEEENSS_IJLi14EEEENSS_IJLi13EEEEEEENS5_IJNSS_IJLi1ELi2ELi3EEEESX_SY_SZ_NSS_IJLi7EEEENSS_IJLi8ELi9EEEENSS_IJLi10EEEES12_S13_S15_S14_NSS_IJLi15ELi16EEEENSS_IJLi17EEEEEEENSS_IJLi15ELi17ELi16EEEElEENSB_INS5_IJSQ_SO_SO_SQ_SG_EEENS5_IJST_SU_SV_SX_SW_EEENS5_IJNSS_IJLi1ELi2EEEESW_SX_NSS_IJLi5ELi6EEEES18_EEENSS_IJLi5ELi7ELi6EEEElEENSB_INS5_IJSK_SO_SO_EEENS5_IJST_SU_SV_EEENS5_IJS1I_SW_SX_EEENSS_IJLi3ELi4EEEElEELi128ELi128ELi16ELi2ELi4ELi4ELi1ENSS_IJLi8ELi2EEEES1S_NSS_IJLi8ELi1ELi1ELi2EEEENSS_IJLi2ELi1ELi128ELi1EEEENSS_IJLi1ELi2ELi0ELi3EEEES1V_NSS_IJLi4ELi1ELi1ELi2EEEES1V_NSS_IJLi1ELi1ELi1ELi2EEEES1T_S1U_S1V_S1V_S1W_S1V_S1X_NSS_IJLi0ELi1ELi2ELi3ELi4ELi5EEEELi5ELi4EEEDF16_NS5_IJPKDF16_EEEDF16_S8_S8_S9_NSB_INS5_IJSE_SG_SI_SG_SG_SK_SG_SM_SM_SO_SO_SQ_SG_SG_NSP_INS5_IJiNS_17integral_constantIiLi128EEEEEELb0EEENSF_INS23_IiLi2EEEEEEEENS5_IJST_SU_SV_SW_SX_SY_SZ_S10_S11_S12_S13_S14_S15_NSS_IJLi15EEEES1C_NSS_IJLi16EEEEEEENS5_IJS17_SX_SY_SZ_S18_S19_S1A_S12_S13_S15_S14_S1B_S1C_NSS_IJLi18EEEENSS_IJLi19ELi20EEEENSS_IJLi21EEEEEEENSS_IJLi18ELi19ELi20ELi21EEEElEENSB_INS5_IJSQ_SO_SO_SQ_SG_SG_S26_S28_EEENS5_IJST_SU_SV_SX_SW_SY_S18_SZ_EEENS5_IJS1I_SW_SX_S1J_S18_NSS_IJLi8EEEENSS_IJLi9ELi10EEEES12_EEENSS_IJLi8ELi9ELi10ELi11EEEElEENS5_IJNSB_INS5_IJSK_SO_SO_NSP_INS5_IJiS27_NS23_IiLi64EEEEEELb0EEES2S_EEENS5_IJST_SU_SV_SW_SX_EEENS5_IJS1I_SW_SX_NSS_IJLi5ELi6ELi7EEEENSS_IJLi8ELi9ELi10EEEEEEENSS_IJLi5ELi6ELi7ELi8ELi9ELi10EEEElEEEEES2Z_NS_31BlockToCTileMap_M00_N00_M01_N01ILi128ELi128ES1R_Lb0EEENS1_30ComputePtrOffsetOfStridedBatchILi1ELi1ELi1EvEELb0ELb0EEEvPKT0_S37_T1_PT2_T3_T4_T5_iT6_T7_T8_T9_T10_T11_.has_indirect_call, 0
	.section	.AMDGPU.csdata,"",@progbits
; Kernel info:
; codeLenInByte = 9032
; TotalNumSgprs: 71
; NumVgprs: 94
; NumAgprs: 0
; TotalNumVgprs: 94
; ScratchSize: 0
; MemoryBound: 0
; FloatMode: 240
; IeeeMode: 1
; LDSByteSize: 32768 bytes/workgroup (compile time only)
; SGPRBlocks: 12
; VGPRBlocks: 11
; NumSGPRsForWavesPerEU: 102
; NumVGPRsForWavesPerEU: 94
; AccumOffset: 96
; Occupancy: 5
; WaveLimiterHint : 0
; COMPUTE_PGM_RSRC2:SCRATCH_EN: 0
; COMPUTE_PGM_RSRC2:USER_SGPR: 2
; COMPUTE_PGM_RSRC2:TRAP_HANDLER: 0
; COMPUTE_PGM_RSRC2:TGID_X_EN: 1
; COMPUTE_PGM_RSRC2:TGID_Y_EN: 0
; COMPUTE_PGM_RSRC2:TGID_Z_EN: 0
; COMPUTE_PGM_RSRC2:TIDIG_COMP_CNT: 0
; COMPUTE_PGM_RSRC3_GFX90A:ACCUM_OFFSET: 23
; COMPUTE_PGM_RSRC3_GFX90A:TG_SPLIT: 0
	.section	.text._ZN2ck16tensor_operation6device12_GLOBAL__N_137kernel_grouped_conv_fwd_dl_multiple_dINS_32GridwiseGemmDlMultipleD_km_kn_mnILi256EDF16_fNS_5TupleIJDF16_EEEDF16_NS0_12element_wise11PassThroughES8_NS7_7AddReluELNS_25InMemoryDataOperationEnumE0ENS_16TensorDescriptorINS5_IJNS_5EmbedINS5_IJiiiiEEESD_Lb0EEENS_11PassThroughIiEENS_3PadIiiiLb0EEESI_SG_SG_NSC_INS5_IJiiEEESJ_Lb0EEESK_SG_NS_23Merge_v2_magic_divisionINS5_IJiiiEEEEESN_NS_8RightPadIiiLb0EEESP_NS_7UnMergeISJ_Lb0EEESG_EEENS5_IJNS_8SequenceIJLi0EEEENST_IJLi1EEEENST_IJLi2EEEENST_IJLi3EEEENST_IJLi4EEEENST_IJLi5EEEENST_IJLi6EEEENST_IJLi7EEEENST_IJLi8EEEENST_IJLi9ELi11ELi13EEEENST_IJLi10ELi12ELi14EEEENST_IJLi15EEEENST_IJLi16EEEENST_IJLi18EEEENST_IJLi17EEEEEEENS5_IJNST_IJLi1ELi2ELi3ELi4EEEESZ_S10_S11_S12_NST_IJLi9EEEENST_IJLi10ELi11EEEENST_IJLi12ELi13EEEENST_IJLi14EEEES15_S16_S18_S17_NST_IJLi19ELi20EEEENST_IJLi21EEEEEEENST_IJLi19ELi21ELi20EEEElEENSB_INS5_IJSR_SP_SP_SR_SG_EEENS5_IJSU_SV_SW_SY_SX_EEENS5_IJNST_IJLi1ELi2EEEESX_SY_NST_IJLi5ELi6EEEES11_EEENST_IJLi5ELi7ELi6EEEElEENSB_INS5_IJSK_SP_SP_EEENS5_IJSU_SV_SW_EEENS5_IJS1M_SX_SY_EEENST_IJLi3ELi4EEEElEELi128ELi128ELi16ELi2ELi4ELi4ELi1ENST_IJLi8ELi2EEEES1W_NST_IJLi8ELi1ELi1ELi2EEEENST_IJLi2ELi1ELi128ELi1EEEENST_IJLi1ELi2ELi0ELi3EEEES1Z_NST_IJLi4ELi1ELi1ELi2EEEES1Z_NST_IJLi1ELi1ELi1ELi2EEEES1X_S1Y_S1Z_S1Z_S20_S1Z_S21_NST_IJLi0ELi1ELi2ELi3ELi4ELi5EEEELi5ELi4EEEDF16_NS5_IJPKDF16_EEEDF16_S8_S8_S9_NSB_INS5_IJSE_SG_SI_SI_SG_SG_SK_SK_SG_SN_SN_SP_SP_SR_SG_SG_NSQ_INS5_IJiNS_17integral_constantIiLi128EEEEEELb0EEENSF_INS27_IiLi2EEEEEEEENS5_IJSU_SV_SW_SX_SY_SZ_S10_S11_S12_S13_S14_S15_S16_S17_S18_NST_IJLi19EEEES1G_NST_IJLi20EEEEEEENS5_IJS1A_SZ_S10_S11_S12_S1B_S1C_S1D_S1E_S15_S16_S18_S17_S1F_S1G_NST_IJLi22EEEENST_IJLi23ELi24EEEENST_IJLi25EEEEEEENST_IJLi22ELi23ELi24ELi25EEEElEENSB_INS5_IJSR_SP_SP_SR_SG_SG_S2A_S2C_EEENS5_IJSU_SV_SW_SY_SX_SZ_S11_S10_EEENS5_IJS1M_SX_SY_S1N_S11_S12_NST_IJLi9ELi10EEEENST_IJLi11EEEEEEENST_IJLi8ELi9ELi10ELi11EEEElEENS5_IJNSB_INS5_IJSK_SP_SP_NSQ_INS5_IJiS2B_NS27_IiLi64EEEEEELb0EEES2W_EEENS5_IJSU_SV_SW_SX_SY_EEENS5_IJS1M_SX_SY_NST_IJLi5ELi6ELi7EEEENST_IJLi8ELi9ELi10EEEEEEENST_IJLi5ELi6ELi7ELi8ELi9ELi10EEEElEEEEES33_NS_31BlockToCTileMap_M00_N00_M01_N01ILi128ELi128ES1V_Lb0EEENS1_30ComputePtrOffsetOfStridedBatchILi1ELi1ELi1EvEELb1ELb1EEEvPKT0_S3B_T1_PT2_T3_T4_T5_iT6_T7_T8_T9_T10_T11_,"axG",@progbits,_ZN2ck16tensor_operation6device12_GLOBAL__N_137kernel_grouped_conv_fwd_dl_multiple_dINS_32GridwiseGemmDlMultipleD_km_kn_mnILi256EDF16_fNS_5TupleIJDF16_EEEDF16_NS0_12element_wise11PassThroughES8_NS7_7AddReluELNS_25InMemoryDataOperationEnumE0ENS_16TensorDescriptorINS5_IJNS_5EmbedINS5_IJiiiiEEESD_Lb0EEENS_11PassThroughIiEENS_3PadIiiiLb0EEESI_SG_SG_NSC_INS5_IJiiEEESJ_Lb0EEESK_SG_NS_23Merge_v2_magic_divisionINS5_IJiiiEEEEESN_NS_8RightPadIiiLb0EEESP_NS_7UnMergeISJ_Lb0EEESG_EEENS5_IJNS_8SequenceIJLi0EEEENST_IJLi1EEEENST_IJLi2EEEENST_IJLi3EEEENST_IJLi4EEEENST_IJLi5EEEENST_IJLi6EEEENST_IJLi7EEEENST_IJLi8EEEENST_IJLi9ELi11ELi13EEEENST_IJLi10ELi12ELi14EEEENST_IJLi15EEEENST_IJLi16EEEENST_IJLi18EEEENST_IJLi17EEEEEEENS5_IJNST_IJLi1ELi2ELi3ELi4EEEESZ_S10_S11_S12_NST_IJLi9EEEENST_IJLi10ELi11EEEENST_IJLi12ELi13EEEENST_IJLi14EEEES15_S16_S18_S17_NST_IJLi19ELi20EEEENST_IJLi21EEEEEEENST_IJLi19ELi21ELi20EEEElEENSB_INS5_IJSR_SP_SP_SR_SG_EEENS5_IJSU_SV_SW_SY_SX_EEENS5_IJNST_IJLi1ELi2EEEESX_SY_NST_IJLi5ELi6EEEES11_EEENST_IJLi5ELi7ELi6EEEElEENSB_INS5_IJSK_SP_SP_EEENS5_IJSU_SV_SW_EEENS5_IJS1M_SX_SY_EEENST_IJLi3ELi4EEEElEELi128ELi128ELi16ELi2ELi4ELi4ELi1ENST_IJLi8ELi2EEEES1W_NST_IJLi8ELi1ELi1ELi2EEEENST_IJLi2ELi1ELi128ELi1EEEENST_IJLi1ELi2ELi0ELi3EEEES1Z_NST_IJLi4ELi1ELi1ELi2EEEES1Z_NST_IJLi1ELi1ELi1ELi2EEEES1X_S1Y_S1Z_S1Z_S20_S1Z_S21_NST_IJLi0ELi1ELi2ELi3ELi4ELi5EEEELi5ELi4EEEDF16_NS5_IJPKDF16_EEEDF16_S8_S8_S9_NSB_INS5_IJSE_SG_SI_SI_SG_SG_SK_SK_SG_SN_SN_SP_SP_SR_SG_SG_NSQ_INS5_IJiNS_17integral_constantIiLi128EEEEEELb0EEENSF_INS27_IiLi2EEEEEEEENS5_IJSU_SV_SW_SX_SY_SZ_S10_S11_S12_S13_S14_S15_S16_S17_S18_NST_IJLi19EEEES1G_NST_IJLi20EEEEEEENS5_IJS1A_SZ_S10_S11_S12_S1B_S1C_S1D_S1E_S15_S16_S18_S17_S1F_S1G_NST_IJLi22EEEENST_IJLi23ELi24EEEENST_IJLi25EEEEEEENST_IJLi22ELi23ELi24ELi25EEEElEENSB_INS5_IJSR_SP_SP_SR_SG_SG_S2A_S2C_EEENS5_IJSU_SV_SW_SY_SX_SZ_S11_S10_EEENS5_IJS1M_SX_SY_S1N_S11_S12_NST_IJLi9ELi10EEEENST_IJLi11EEEEEEENST_IJLi8ELi9ELi10ELi11EEEElEENS5_IJNSB_INS5_IJSK_SP_SP_NSQ_INS5_IJiS2B_NS27_IiLi64EEEEEELb0EEES2W_EEENS5_IJSU_SV_SW_SX_SY_EEENS5_IJS1M_SX_SY_NST_IJLi5ELi6ELi7EEEENST_IJLi8ELi9ELi10EEEEEEENST_IJLi5ELi6ELi7ELi8ELi9ELi10EEEElEEEEES33_NS_31BlockToCTileMap_M00_N00_M01_N01ILi128ELi128ES1V_Lb0EEENS1_30ComputePtrOffsetOfStridedBatchILi1ELi1ELi1EvEELb1ELb1EEEvPKT0_S3B_T1_PT2_T3_T4_T5_iT6_T7_T8_T9_T10_T11_,comdat
	.globl	_ZN2ck16tensor_operation6device12_GLOBAL__N_137kernel_grouped_conv_fwd_dl_multiple_dINS_32GridwiseGemmDlMultipleD_km_kn_mnILi256EDF16_fNS_5TupleIJDF16_EEEDF16_NS0_12element_wise11PassThroughES8_NS7_7AddReluELNS_25InMemoryDataOperationEnumE0ENS_16TensorDescriptorINS5_IJNS_5EmbedINS5_IJiiiiEEESD_Lb0EEENS_11PassThroughIiEENS_3PadIiiiLb0EEESI_SG_SG_NSC_INS5_IJiiEEESJ_Lb0EEESK_SG_NS_23Merge_v2_magic_divisionINS5_IJiiiEEEEESN_NS_8RightPadIiiLb0EEESP_NS_7UnMergeISJ_Lb0EEESG_EEENS5_IJNS_8SequenceIJLi0EEEENST_IJLi1EEEENST_IJLi2EEEENST_IJLi3EEEENST_IJLi4EEEENST_IJLi5EEEENST_IJLi6EEEENST_IJLi7EEEENST_IJLi8EEEENST_IJLi9ELi11ELi13EEEENST_IJLi10ELi12ELi14EEEENST_IJLi15EEEENST_IJLi16EEEENST_IJLi18EEEENST_IJLi17EEEEEEENS5_IJNST_IJLi1ELi2ELi3ELi4EEEESZ_S10_S11_S12_NST_IJLi9EEEENST_IJLi10ELi11EEEENST_IJLi12ELi13EEEENST_IJLi14EEEES15_S16_S18_S17_NST_IJLi19ELi20EEEENST_IJLi21EEEEEEENST_IJLi19ELi21ELi20EEEElEENSB_INS5_IJSR_SP_SP_SR_SG_EEENS5_IJSU_SV_SW_SY_SX_EEENS5_IJNST_IJLi1ELi2EEEESX_SY_NST_IJLi5ELi6EEEES11_EEENST_IJLi5ELi7ELi6EEEElEENSB_INS5_IJSK_SP_SP_EEENS5_IJSU_SV_SW_EEENS5_IJS1M_SX_SY_EEENST_IJLi3ELi4EEEElEELi128ELi128ELi16ELi2ELi4ELi4ELi1ENST_IJLi8ELi2EEEES1W_NST_IJLi8ELi1ELi1ELi2EEEENST_IJLi2ELi1ELi128ELi1EEEENST_IJLi1ELi2ELi0ELi3EEEES1Z_NST_IJLi4ELi1ELi1ELi2EEEES1Z_NST_IJLi1ELi1ELi1ELi2EEEES1X_S1Y_S1Z_S1Z_S20_S1Z_S21_NST_IJLi0ELi1ELi2ELi3ELi4ELi5EEEELi5ELi4EEEDF16_NS5_IJPKDF16_EEEDF16_S8_S8_S9_NSB_INS5_IJSE_SG_SI_SI_SG_SG_SK_SK_SG_SN_SN_SP_SP_SR_SG_SG_NSQ_INS5_IJiNS_17integral_constantIiLi128EEEEEELb0EEENSF_INS27_IiLi2EEEEEEEENS5_IJSU_SV_SW_SX_SY_SZ_S10_S11_S12_S13_S14_S15_S16_S17_S18_NST_IJLi19EEEES1G_NST_IJLi20EEEEEEENS5_IJS1A_SZ_S10_S11_S12_S1B_S1C_S1D_S1E_S15_S16_S18_S17_S1F_S1G_NST_IJLi22EEEENST_IJLi23ELi24EEEENST_IJLi25EEEEEEENST_IJLi22ELi23ELi24ELi25EEEElEENSB_INS5_IJSR_SP_SP_SR_SG_SG_S2A_S2C_EEENS5_IJSU_SV_SW_SY_SX_SZ_S11_S10_EEENS5_IJS1M_SX_SY_S1N_S11_S12_NST_IJLi9ELi10EEEENST_IJLi11EEEEEEENST_IJLi8ELi9ELi10ELi11EEEElEENS5_IJNSB_INS5_IJSK_SP_SP_NSQ_INS5_IJiS2B_NS27_IiLi64EEEEEELb0EEES2W_EEENS5_IJSU_SV_SW_SX_SY_EEENS5_IJS1M_SX_SY_NST_IJLi5ELi6ELi7EEEENST_IJLi8ELi9ELi10EEEEEEENST_IJLi5ELi6ELi7ELi8ELi9ELi10EEEElEEEEES33_NS_31BlockToCTileMap_M00_N00_M01_N01ILi128ELi128ES1V_Lb0EEENS1_30ComputePtrOffsetOfStridedBatchILi1ELi1ELi1EvEELb1ELb1EEEvPKT0_S3B_T1_PT2_T3_T4_T5_iT6_T7_T8_T9_T10_T11_ ; -- Begin function _ZN2ck16tensor_operation6device12_GLOBAL__N_137kernel_grouped_conv_fwd_dl_multiple_dINS_32GridwiseGemmDlMultipleD_km_kn_mnILi256EDF16_fNS_5TupleIJDF16_EEEDF16_NS0_12element_wise11PassThroughES8_NS7_7AddReluELNS_25InMemoryDataOperationEnumE0ENS_16TensorDescriptorINS5_IJNS_5EmbedINS5_IJiiiiEEESD_Lb0EEENS_11PassThroughIiEENS_3PadIiiiLb0EEESI_SG_SG_NSC_INS5_IJiiEEESJ_Lb0EEESK_SG_NS_23Merge_v2_magic_divisionINS5_IJiiiEEEEESN_NS_8RightPadIiiLb0EEESP_NS_7UnMergeISJ_Lb0EEESG_EEENS5_IJNS_8SequenceIJLi0EEEENST_IJLi1EEEENST_IJLi2EEEENST_IJLi3EEEENST_IJLi4EEEENST_IJLi5EEEENST_IJLi6EEEENST_IJLi7EEEENST_IJLi8EEEENST_IJLi9ELi11ELi13EEEENST_IJLi10ELi12ELi14EEEENST_IJLi15EEEENST_IJLi16EEEENST_IJLi18EEEENST_IJLi17EEEEEEENS5_IJNST_IJLi1ELi2ELi3ELi4EEEESZ_S10_S11_S12_NST_IJLi9EEEENST_IJLi10ELi11EEEENST_IJLi12ELi13EEEENST_IJLi14EEEES15_S16_S18_S17_NST_IJLi19ELi20EEEENST_IJLi21EEEEEEENST_IJLi19ELi21ELi20EEEElEENSB_INS5_IJSR_SP_SP_SR_SG_EEENS5_IJSU_SV_SW_SY_SX_EEENS5_IJNST_IJLi1ELi2EEEESX_SY_NST_IJLi5ELi6EEEES11_EEENST_IJLi5ELi7ELi6EEEElEENSB_INS5_IJSK_SP_SP_EEENS5_IJSU_SV_SW_EEENS5_IJS1M_SX_SY_EEENST_IJLi3ELi4EEEElEELi128ELi128ELi16ELi2ELi4ELi4ELi1ENST_IJLi8ELi2EEEES1W_NST_IJLi8ELi1ELi1ELi2EEEENST_IJLi2ELi1ELi128ELi1EEEENST_IJLi1ELi2ELi0ELi3EEEES1Z_NST_IJLi4ELi1ELi1ELi2EEEES1Z_NST_IJLi1ELi1ELi1ELi2EEEES1X_S1Y_S1Z_S1Z_S20_S1Z_S21_NST_IJLi0ELi1ELi2ELi3ELi4ELi5EEEELi5ELi4EEEDF16_NS5_IJPKDF16_EEEDF16_S8_S8_S9_NSB_INS5_IJSE_SG_SI_SI_SG_SG_SK_SK_SG_SN_SN_SP_SP_SR_SG_SG_NSQ_INS5_IJiNS_17integral_constantIiLi128EEEEEELb0EEENSF_INS27_IiLi2EEEEEEEENS5_IJSU_SV_SW_SX_SY_SZ_S10_S11_S12_S13_S14_S15_S16_S17_S18_NST_IJLi19EEEES1G_NST_IJLi20EEEEEEENS5_IJS1A_SZ_S10_S11_S12_S1B_S1C_S1D_S1E_S15_S16_S18_S17_S1F_S1G_NST_IJLi22EEEENST_IJLi23ELi24EEEENST_IJLi25EEEEEEENST_IJLi22ELi23ELi24ELi25EEEElEENSB_INS5_IJSR_SP_SP_SR_SG_SG_S2A_S2C_EEENS5_IJSU_SV_SW_SY_SX_SZ_S11_S10_EEENS5_IJS1M_SX_SY_S1N_S11_S12_NST_IJLi9ELi10EEEENST_IJLi11EEEEEEENST_IJLi8ELi9ELi10ELi11EEEElEENS5_IJNSB_INS5_IJSK_SP_SP_NSQ_INS5_IJiS2B_NS27_IiLi64EEEEEELb0EEES2W_EEENS5_IJSU_SV_SW_SX_SY_EEENS5_IJS1M_SX_SY_NST_IJLi5ELi6ELi7EEEENST_IJLi8ELi9ELi10EEEEEEENST_IJLi5ELi6ELi7ELi8ELi9ELi10EEEElEEEEES33_NS_31BlockToCTileMap_M00_N00_M01_N01ILi128ELi128ES1V_Lb0EEENS1_30ComputePtrOffsetOfStridedBatchILi1ELi1ELi1EvEELb1ELb1EEEvPKT0_S3B_T1_PT2_T3_T4_T5_iT6_T7_T8_T9_T10_T11_
	.p2align	8
	.type	_ZN2ck16tensor_operation6device12_GLOBAL__N_137kernel_grouped_conv_fwd_dl_multiple_dINS_32GridwiseGemmDlMultipleD_km_kn_mnILi256EDF16_fNS_5TupleIJDF16_EEEDF16_NS0_12element_wise11PassThroughES8_NS7_7AddReluELNS_25InMemoryDataOperationEnumE0ENS_16TensorDescriptorINS5_IJNS_5EmbedINS5_IJiiiiEEESD_Lb0EEENS_11PassThroughIiEENS_3PadIiiiLb0EEESI_SG_SG_NSC_INS5_IJiiEEESJ_Lb0EEESK_SG_NS_23Merge_v2_magic_divisionINS5_IJiiiEEEEESN_NS_8RightPadIiiLb0EEESP_NS_7UnMergeISJ_Lb0EEESG_EEENS5_IJNS_8SequenceIJLi0EEEENST_IJLi1EEEENST_IJLi2EEEENST_IJLi3EEEENST_IJLi4EEEENST_IJLi5EEEENST_IJLi6EEEENST_IJLi7EEEENST_IJLi8EEEENST_IJLi9ELi11ELi13EEEENST_IJLi10ELi12ELi14EEEENST_IJLi15EEEENST_IJLi16EEEENST_IJLi18EEEENST_IJLi17EEEEEEENS5_IJNST_IJLi1ELi2ELi3ELi4EEEESZ_S10_S11_S12_NST_IJLi9EEEENST_IJLi10ELi11EEEENST_IJLi12ELi13EEEENST_IJLi14EEEES15_S16_S18_S17_NST_IJLi19ELi20EEEENST_IJLi21EEEEEEENST_IJLi19ELi21ELi20EEEElEENSB_INS5_IJSR_SP_SP_SR_SG_EEENS5_IJSU_SV_SW_SY_SX_EEENS5_IJNST_IJLi1ELi2EEEESX_SY_NST_IJLi5ELi6EEEES11_EEENST_IJLi5ELi7ELi6EEEElEENSB_INS5_IJSK_SP_SP_EEENS5_IJSU_SV_SW_EEENS5_IJS1M_SX_SY_EEENST_IJLi3ELi4EEEElEELi128ELi128ELi16ELi2ELi4ELi4ELi1ENST_IJLi8ELi2EEEES1W_NST_IJLi8ELi1ELi1ELi2EEEENST_IJLi2ELi1ELi128ELi1EEEENST_IJLi1ELi2ELi0ELi3EEEES1Z_NST_IJLi4ELi1ELi1ELi2EEEES1Z_NST_IJLi1ELi1ELi1ELi2EEEES1X_S1Y_S1Z_S1Z_S20_S1Z_S21_NST_IJLi0ELi1ELi2ELi3ELi4ELi5EEEELi5ELi4EEEDF16_NS5_IJPKDF16_EEEDF16_S8_S8_S9_NSB_INS5_IJSE_SG_SI_SI_SG_SG_SK_SK_SG_SN_SN_SP_SP_SR_SG_SG_NSQ_INS5_IJiNS_17integral_constantIiLi128EEEEEELb0EEENSF_INS27_IiLi2EEEEEEEENS5_IJSU_SV_SW_SX_SY_SZ_S10_S11_S12_S13_S14_S15_S16_S17_S18_NST_IJLi19EEEES1G_NST_IJLi20EEEEEEENS5_IJS1A_SZ_S10_S11_S12_S1B_S1C_S1D_S1E_S15_S16_S18_S17_S1F_S1G_NST_IJLi22EEEENST_IJLi23ELi24EEEENST_IJLi25EEEEEEENST_IJLi22ELi23ELi24ELi25EEEElEENSB_INS5_IJSR_SP_SP_SR_SG_SG_S2A_S2C_EEENS5_IJSU_SV_SW_SY_SX_SZ_S11_S10_EEENS5_IJS1M_SX_SY_S1N_S11_S12_NST_IJLi9ELi10EEEENST_IJLi11EEEEEEENST_IJLi8ELi9ELi10ELi11EEEElEENS5_IJNSB_INS5_IJSK_SP_SP_NSQ_INS5_IJiS2B_NS27_IiLi64EEEEEELb0EEES2W_EEENS5_IJSU_SV_SW_SX_SY_EEENS5_IJS1M_SX_SY_NST_IJLi5ELi6ELi7EEEENST_IJLi8ELi9ELi10EEEEEEENST_IJLi5ELi6ELi7ELi8ELi9ELi10EEEElEEEEES33_NS_31BlockToCTileMap_M00_N00_M01_N01ILi128ELi128ES1V_Lb0EEENS1_30ComputePtrOffsetOfStridedBatchILi1ELi1ELi1EvEELb1ELb1EEEvPKT0_S3B_T1_PT2_T3_T4_T5_iT6_T7_T8_T9_T10_T11_,@function
_ZN2ck16tensor_operation6device12_GLOBAL__N_137kernel_grouped_conv_fwd_dl_multiple_dINS_32GridwiseGemmDlMultipleD_km_kn_mnILi256EDF16_fNS_5TupleIJDF16_EEEDF16_NS0_12element_wise11PassThroughES8_NS7_7AddReluELNS_25InMemoryDataOperationEnumE0ENS_16TensorDescriptorINS5_IJNS_5EmbedINS5_IJiiiiEEESD_Lb0EEENS_11PassThroughIiEENS_3PadIiiiLb0EEESI_SG_SG_NSC_INS5_IJiiEEESJ_Lb0EEESK_SG_NS_23Merge_v2_magic_divisionINS5_IJiiiEEEEESN_NS_8RightPadIiiLb0EEESP_NS_7UnMergeISJ_Lb0EEESG_EEENS5_IJNS_8SequenceIJLi0EEEENST_IJLi1EEEENST_IJLi2EEEENST_IJLi3EEEENST_IJLi4EEEENST_IJLi5EEEENST_IJLi6EEEENST_IJLi7EEEENST_IJLi8EEEENST_IJLi9ELi11ELi13EEEENST_IJLi10ELi12ELi14EEEENST_IJLi15EEEENST_IJLi16EEEENST_IJLi18EEEENST_IJLi17EEEEEEENS5_IJNST_IJLi1ELi2ELi3ELi4EEEESZ_S10_S11_S12_NST_IJLi9EEEENST_IJLi10ELi11EEEENST_IJLi12ELi13EEEENST_IJLi14EEEES15_S16_S18_S17_NST_IJLi19ELi20EEEENST_IJLi21EEEEEEENST_IJLi19ELi21ELi20EEEElEENSB_INS5_IJSR_SP_SP_SR_SG_EEENS5_IJSU_SV_SW_SY_SX_EEENS5_IJNST_IJLi1ELi2EEEESX_SY_NST_IJLi5ELi6EEEES11_EEENST_IJLi5ELi7ELi6EEEElEENSB_INS5_IJSK_SP_SP_EEENS5_IJSU_SV_SW_EEENS5_IJS1M_SX_SY_EEENST_IJLi3ELi4EEEElEELi128ELi128ELi16ELi2ELi4ELi4ELi1ENST_IJLi8ELi2EEEES1W_NST_IJLi8ELi1ELi1ELi2EEEENST_IJLi2ELi1ELi128ELi1EEEENST_IJLi1ELi2ELi0ELi3EEEES1Z_NST_IJLi4ELi1ELi1ELi2EEEES1Z_NST_IJLi1ELi1ELi1ELi2EEEES1X_S1Y_S1Z_S1Z_S20_S1Z_S21_NST_IJLi0ELi1ELi2ELi3ELi4ELi5EEEELi5ELi4EEEDF16_NS5_IJPKDF16_EEEDF16_S8_S8_S9_NSB_INS5_IJSE_SG_SI_SI_SG_SG_SK_SK_SG_SN_SN_SP_SP_SR_SG_SG_NSQ_INS5_IJiNS_17integral_constantIiLi128EEEEEELb0EEENSF_INS27_IiLi2EEEEEEEENS5_IJSU_SV_SW_SX_SY_SZ_S10_S11_S12_S13_S14_S15_S16_S17_S18_NST_IJLi19EEEES1G_NST_IJLi20EEEEEEENS5_IJS1A_SZ_S10_S11_S12_S1B_S1C_S1D_S1E_S15_S16_S18_S17_S1F_S1G_NST_IJLi22EEEENST_IJLi23ELi24EEEENST_IJLi25EEEEEEENST_IJLi22ELi23ELi24ELi25EEEElEENSB_INS5_IJSR_SP_SP_SR_SG_SG_S2A_S2C_EEENS5_IJSU_SV_SW_SY_SX_SZ_S11_S10_EEENS5_IJS1M_SX_SY_S1N_S11_S12_NST_IJLi9ELi10EEEENST_IJLi11EEEEEEENST_IJLi8ELi9ELi10ELi11EEEElEENS5_IJNSB_INS5_IJSK_SP_SP_NSQ_INS5_IJiS2B_NS27_IiLi64EEEEEELb0EEES2W_EEENS5_IJSU_SV_SW_SX_SY_EEENS5_IJS1M_SX_SY_NST_IJLi5ELi6ELi7EEEENST_IJLi8ELi9ELi10EEEEEEENST_IJLi5ELi6ELi7ELi8ELi9ELi10EEEElEEEEES33_NS_31BlockToCTileMap_M00_N00_M01_N01ILi128ELi128ES1V_Lb0EEENS1_30ComputePtrOffsetOfStridedBatchILi1ELi1ELi1EvEELb1ELb1EEEvPKT0_S3B_T1_PT2_T3_T4_T5_iT6_T7_T8_T9_T10_T11_: ; @_ZN2ck16tensor_operation6device12_GLOBAL__N_137kernel_grouped_conv_fwd_dl_multiple_dINS_32GridwiseGemmDlMultipleD_km_kn_mnILi256EDF16_fNS_5TupleIJDF16_EEEDF16_NS0_12element_wise11PassThroughES8_NS7_7AddReluELNS_25InMemoryDataOperationEnumE0ENS_16TensorDescriptorINS5_IJNS_5EmbedINS5_IJiiiiEEESD_Lb0EEENS_11PassThroughIiEENS_3PadIiiiLb0EEESI_SG_SG_NSC_INS5_IJiiEEESJ_Lb0EEESK_SG_NS_23Merge_v2_magic_divisionINS5_IJiiiEEEEESN_NS_8RightPadIiiLb0EEESP_NS_7UnMergeISJ_Lb0EEESG_EEENS5_IJNS_8SequenceIJLi0EEEENST_IJLi1EEEENST_IJLi2EEEENST_IJLi3EEEENST_IJLi4EEEENST_IJLi5EEEENST_IJLi6EEEENST_IJLi7EEEENST_IJLi8EEEENST_IJLi9ELi11ELi13EEEENST_IJLi10ELi12ELi14EEEENST_IJLi15EEEENST_IJLi16EEEENST_IJLi18EEEENST_IJLi17EEEEEEENS5_IJNST_IJLi1ELi2ELi3ELi4EEEESZ_S10_S11_S12_NST_IJLi9EEEENST_IJLi10ELi11EEEENST_IJLi12ELi13EEEENST_IJLi14EEEES15_S16_S18_S17_NST_IJLi19ELi20EEEENST_IJLi21EEEEEEENST_IJLi19ELi21ELi20EEEElEENSB_INS5_IJSR_SP_SP_SR_SG_EEENS5_IJSU_SV_SW_SY_SX_EEENS5_IJNST_IJLi1ELi2EEEESX_SY_NST_IJLi5ELi6EEEES11_EEENST_IJLi5ELi7ELi6EEEElEENSB_INS5_IJSK_SP_SP_EEENS5_IJSU_SV_SW_EEENS5_IJS1M_SX_SY_EEENST_IJLi3ELi4EEEElEELi128ELi128ELi16ELi2ELi4ELi4ELi1ENST_IJLi8ELi2EEEES1W_NST_IJLi8ELi1ELi1ELi2EEEENST_IJLi2ELi1ELi128ELi1EEEENST_IJLi1ELi2ELi0ELi3EEEES1Z_NST_IJLi4ELi1ELi1ELi2EEEES1Z_NST_IJLi1ELi1ELi1ELi2EEEES1X_S1Y_S1Z_S1Z_S20_S1Z_S21_NST_IJLi0ELi1ELi2ELi3ELi4ELi5EEEELi5ELi4EEEDF16_NS5_IJPKDF16_EEEDF16_S8_S8_S9_NSB_INS5_IJSE_SG_SI_SI_SG_SG_SK_SK_SG_SN_SN_SP_SP_SR_SG_SG_NSQ_INS5_IJiNS_17integral_constantIiLi128EEEEEELb0EEENSF_INS27_IiLi2EEEEEEEENS5_IJSU_SV_SW_SX_SY_SZ_S10_S11_S12_S13_S14_S15_S16_S17_S18_NST_IJLi19EEEES1G_NST_IJLi20EEEEEEENS5_IJS1A_SZ_S10_S11_S12_S1B_S1C_S1D_S1E_S15_S16_S18_S17_S1F_S1G_NST_IJLi22EEEENST_IJLi23ELi24EEEENST_IJLi25EEEEEEENST_IJLi22ELi23ELi24ELi25EEEElEENSB_INS5_IJSR_SP_SP_SR_SG_SG_S2A_S2C_EEENS5_IJSU_SV_SW_SY_SX_SZ_S11_S10_EEENS5_IJS1M_SX_SY_S1N_S11_S12_NST_IJLi9ELi10EEEENST_IJLi11EEEEEEENST_IJLi8ELi9ELi10ELi11EEEElEENS5_IJNSB_INS5_IJSK_SP_SP_NSQ_INS5_IJiS2B_NS27_IiLi64EEEEEELb0EEES2W_EEENS5_IJSU_SV_SW_SX_SY_EEENS5_IJS1M_SX_SY_NST_IJLi5ELi6ELi7EEEENST_IJLi8ELi9ELi10EEEEEEENST_IJLi5ELi6ELi7ELi8ELi9ELi10EEEElEEEEES33_NS_31BlockToCTileMap_M00_N00_M01_N01ILi128ELi128ES1V_Lb0EEENS1_30ComputePtrOffsetOfStridedBatchILi1ELi1ELi1EvEELb1ELb1EEEvPKT0_S3B_T1_PT2_T3_T4_T5_iT6_T7_T8_T9_T10_T11_
; %bb.0:
	s_load_dword s3, s[0:1], 0x24
	s_load_dwordx4 s[24:27], s[0:1], 0x38
	s_load_dwordx4 s[4:7], s[0:1], 0x0
	s_load_dwordx2 s[50:51], s[0:1], 0x18
	s_load_dword s9, s[0:1], 0x2c8
	s_load_dwordx2 s[38:39], s[0:1], 0xa0
	s_load_dwordx2 s[30:31], s[0:1], 0xac
	s_load_dwordx2 s[44:45], s[0:1], 0xbc
	s_load_dwordx2 s[46:47], s[0:1], 0xc8
	v_lshrrev_b32_e32 v22, 1, v0
	s_waitcnt lgkmcnt(0)
	s_abs_i32 s8, s3
	v_cvt_f32_u32_e32 v1, s8
	s_sub_i32 s10, 0, s8
	s_xor_b32 s3, s9, s3
	s_abs_i32 s9, s9
	v_rcp_iflag_f32_e32 v1, v1
	s_ashr_i32 s3, s3, 31
	v_lshrrev_b32_e32 v28, 5, v0
	v_lshlrev_b32_e32 v30, 1, v0
	v_mul_f32_e32 v1, 0x4f7ffffe, v1
	v_cvt_u32_f32_e32 v1, v1
	v_lshlrev_b32_e32 v29, 6, v28
	v_and_b32_e32 v31, 0x1f8, v30
	v_sub_u32_e32 v29, v31, v29
	v_readfirstlane_b32 s11, v1
	s_mul_i32 s10, s10, s11
	s_mul_hi_u32 s10, s11, s10
	s_add_i32 s11, s11, s10
	s_mul_hi_u32 s10, s9, s11
	s_mul_i32 s11, s10, s8
	s_sub_i32 s9, s9, s11
	s_add_i32 s11, s10, 1
	s_sub_i32 s12, s9, s8
	s_cmp_ge_u32 s9, s8
	s_cselect_b32 s10, s11, s10
	s_cselect_b32 s9, s12, s9
	s_add_i32 s11, s10, 1
	s_cmp_ge_u32 s9, s8
	s_cselect_b32 s8, s11, s10
	s_xor_b32 s8, s8, s3
	s_sub_i32 s28, s8, s3
	s_abs_i32 s33, s28
	v_cvt_f32_u32_e32 v1, s33
	s_load_dwordx2 s[48:49], s[0:1], 0xd4
	s_load_dword s69, s[0:1], 0xe4
	s_load_dword s58, s[0:1], 0xf0
	;; [unrolled: 1-line block ×7, first 2 shown]
	s_load_dwordx8 s[16:23], s[0:1], 0x264
	s_waitcnt lgkmcnt(0)
	s_xor_b32 s17, s2, s28
	s_sub_i32 s28, 0, s33
	v_rcp_iflag_f32_e32 v1, v1
	s_abs_i32 s19, s2
	s_ashr_i32 s17, s17, 31
	s_load_dwordx4 s[40:43], s[0:1], 0x288
	s_load_dwordx8 s[8:15], s[0:1], 0x2a0
	v_mul_f32_e32 v1, 0x4f7ffffe, v1
	v_cvt_u32_f32_e32 v1, v1
	s_mov_b32 s64, s25
	s_mov_b32 s65, s26
	;; [unrolled: 1-line block ×3, first 2 shown]
	v_readfirstlane_b32 s34, v1
	s_mul_i32 s28, s28, s34
	s_mul_hi_u32 s28, s34, s28
	s_add_i32 s34, s34, s28
	s_mul_hi_u32 s28, s19, s34
	s_mul_i32 s34, s28, s33
	s_sub_i32 s19, s19, s34
	s_add_i32 s34, s28, 1
	s_sub_i32 s35, s19, s33
	s_cmp_ge_u32 s19, s33
	s_cselect_b32 s28, s34, s28
	s_cselect_b32 s19, s35, s19
	s_add_i32 s34, s28, 1
	s_cmp_ge_u32 s19, s33
	s_cselect_b32 s19, s34, s28
	s_xor_b32 s19, s19, s17
	s_sub_i32 s59, s19, s17
	s_ashr_i32 s60, s59, 31
	s_waitcnt lgkmcnt(0)
	s_mul_i32 s17, s8, s60
	s_mul_hi_u32 s19, s8, s59
	s_add_i32 s17, s19, s17
	s_mul_i32 s9, s9, s59
	s_add_i32 s9, s17, s9
	s_mul_i32 s17, s10, s60
	s_mul_hi_u32 s19, s10, s59
	s_mul_i32 s8, s8, s59
	s_add_i32 s17, s19, s17
	s_mul_i32 s11, s11, s59
	s_add_i32 s11, s17, s11
	s_lshl_b64 s[8:9], s[8:9], 1
	s_mul_i32 s10, s10, s59
	s_add_u32 s36, s4, s8
	s_addc_u32 s5, s5, s9
	s_lshl_b64 s[8:9], s[10:11], 1
	s_add_u32 s28, s6, s8
	s_mul_hi_u32 s6, s23, s2
	s_addc_u32 s4, s7, s9
	s_add_i32 s7, s2, s6
	s_load_dword s6, s[0:1], 0x244
	s_load_dword s17, s[0:1], 0x254
	s_load_dwordx4 s[8:11], s[0:1], 0x260
	s_lshr_b32 s7, s7, s43
	s_waitcnt lgkmcnt(0)
	s_mul_hi_u32 s9, s7, s22
	s_add_i32 s9, s7, s9
	s_lshr_b32 s9, s9, s42
	s_mul_hi_u32 s11, s9, s21
	v_lshlrev_b32_e32 v1, 3, v0
	s_add_i32 s11, s9, s11
	v_and_b32_e32 v23, 8, v1
	s_lshr_b32 s11, s11, s41
	s_mul_i32 s18, s7, s18
	v_mul_lo_u32 v25, s70, v23
	s_sub_i32 s54, s2, s18
	s_mul_hi_u32 s2, s11, s20
	v_mul_hi_u32 v1, v25, s47
	s_add_i32 s2, s11, s2
	v_add_u32_e32 v1, v25, v1
	s_lshr_b32 s2, s2, s40
	v_lshrrev_b32_e32 v1, s49, v1
	s_mul_i32 s16, s11, s16
	s_mul_i32 s2, s2, s8
	v_mul_lo_u32 v2, v1, s45
	s_sub_i32 s16, s9, s16
	s_mul_i32 s9, s9, s10
	s_sub_i32 s2, s11, s2
	v_sub_u32_e32 v3, v25, v2
	v_mul_hi_u32 v2, v1, s46
	s_sub_i32 s57, s7, s9
	s_mul_i32 s2, s2, s6
	v_add_u32_e32 v2, v1, v2
	s_add_i32 s57, s57, s2
	v_lshrrev_b32_e32 v7, s48, v2
	v_lshl_or_b32 v24, s57, 7, v22
	v_mul_lo_u32 v2, v7, s44
	v_sub_u32_e32 v8, v1, v2
	v_mul_hi_u32 v1, v24, s39
	s_load_dwordx2 s[34:35], s[0:1], 0x228
	s_load_dwordx2 s[6:7], s[0:1], 0x94
	v_add_u32_e32 v1, v24, v1
	v_lshrrev_b32_e32 v4, s31, v1
	v_mul_hi_u32 v1, v4, s38
	v_add_u32_e32 v1, v4, v1
	s_lshl_b32 s63, s70, 2
	v_lshrrev_b32_e32 v1, s30, v1
	v_add_u32_e32 v92, s63, v25
	s_load_dwordx2 s[52:53], s[0:1], 0x5c
	s_load_dwordx2 s[30:31], s[0:1], 0x74
	;; [unrolled: 1-line block ×3, first 2 shown]
	s_waitcnt lgkmcnt(0)
	v_mul_lo_u32 v5, v1, s6
	v_mul_lo_u32 v9, v1, s24
	v_mul_hi_u32 v1, v92, s47
	v_add_u32_e32 v1, v92, v1
	s_mul_i32 s16, s16, s17
	v_lshrrev_b32_e32 v10, s49, v1
	s_add_i32 s54, s54, s16
	s_load_dword s71, s[0:1], 0x160
	s_load_dword s2, s[0:1], 0x188
	s_load_dwordx2 s[40:41], s[0:1], 0x198
	s_load_dword s55, s[0:1], 0x1a4
	s_load_dword s56, s[0:1], 0x1b0
	;; [unrolled: 1-line block ×3, first 2 shown]
	v_mul_lo_u32 v1, v10, s45
	s_load_dwordx4 s[16:19], s[0:1], 0x50
	s_load_dwordx4 s[8:11], s[0:1], 0x4c
	v_mul_lo_u32 v6, v4, s7
	v_sub_u32_e32 v1, v92, v1
	v_mul_lo_u32 v2, v3, s27
	v_sub_u32_e32 v11, v1, v3
	v_sub_u32_e32 v3, v4, v5
	;; [unrolled: 1-line block ×3, first 2 shown]
	v_mul_lo_u32 v4, v8, s72
	v_mul_lo_u32 v6, v7, s30
	v_mad_u64_u32 v[18:19], s[6:7], v3, s31, v[6:7]
	v_mad_u64_u32 v[20:21], s[6:7], v5, s73, v[4:5]
	v_subrev_u32_e32 v3, s52, v20
	s_waitcnt lgkmcnt(0)
	v_subrev_u32_e32 v4, s16, v18
	v_mul_hi_u32 v6, v10, s46
	v_mul_lo_u32 v4, v4, s25
	v_mad_u64_u32 v[2:3], s[6:7], v3, s26, v[2:3]
	v_add_u32_e32 v6, v10, v6
	v_add3_u32 v9, v2, v9, v4
	v_lshrrev_b32_e32 v86, s48, v6
	s_lshl_b32 s38, s29, 1
	s_and_b32 s37, s5, 0xffff
	s_mov_b32 s39, 0x20000
	v_lshlrev_b32_e32 v2, 1, v9
	v_mul_lo_u32 v6, v86, s44
	buffer_load_dwordx4 v[2:5], v2, s[36:39], 0 offen
	v_sub_u32_e32 v87, v10, v6
	v_sub_u32_e32 v6, v86, v7
	;; [unrolled: 1-line block ×3, first 2 shown]
	v_mul_lo_u32 v19, v7, s72
	v_mul_lo_u32 v21, v6, s30
	;; [unrolled: 1-line block ×4, first 2 shown]
	v_mad_u64_u32 v[6:7], s[6:7], v21, s25, v[6:7]
	v_lshl_or_b32 v26, s54, 7, v22
	v_add3_u32 v80, v6, v8, v9
	v_mul_lo_u32 v27, s71, v23
	v_lshlrev_b32_e32 v6, 1, v80
	v_mul_lo_u32 v91, v26, s3
	buffer_load_dwordx4 v[6:9], v6, s[36:39], 0 offen
	v_add_u32_e32 v14, v91, v27
	s_and_b32 s29, s4, 0xffff
	s_lshl_b32 s22, s2, 1
	s_mov_b32 s20, s28
	s_mov_b32 s21, s29
	;; [unrolled: 1-line block ×3, first 2 shown]
	v_lshlrev_b32_e32 v10, 1, v14
	buffer_load_dwordx4 v[10:13], v10, s[20:23], 0 offen
	s_lshl_b32 s62, s71, 2
	v_add_lshl_u32 v14, v14, s62, 1
	buffer_load_dwordx4 v[14:17], v14, s[20:23], 0 offen
	s_sub_i32 s21, s11, s53
	v_cmp_gt_i32_e64 s[2:3], s58, v25
	v_cmp_gt_i32_e64 s[6:7], s21, v20
	v_cmp_le_i32_e64 s[4:5], s52, v20
	s_sub_i32 s17, s8, s17
	s_and_b64 s[2:3], s[6:7], s[2:3]
	s_and_b64 s[6:7], s[2:3], s[4:5]
	v_cmp_le_i32_e64 s[2:3], s16, v18
	v_cmp_gt_i32_e64 s[4:5], s17, v18
	s_and_b64 s[2:3], s[2:3], s[4:5]
	v_lshlrev_b32_e32 v0, 2, v0
	v_cmp_gt_i32_e32 vcc, s69, v24
	s_and_b64 s[2:3], s[6:7], s[2:3]
	v_and_or_b32 v83, v0, 4, v29
	v_lshlrev_b32_e32 v0, 3, v28
	s_and_b64 s[2:3], vcc, s[2:3]
	v_add_u32_e32 v81, v20, v19
	v_and_or_b32 v85, v30, 4, v0
	v_cmp_gt_i32_e64 s[6:7], s21, v81
	v_add_u32_e32 v82, v18, v21
	v_cmp_le_i32_e64 s[4:5], s52, v81
	v_add_u32_e32 v93, s62, v27
	s_load_dwordx2 s[42:43], s[0:1], 0x1d8
	s_load_dwordx2 s[18:19], s[0:1], 0x1e8
	s_load_dword s33, s[0:1], 0x1f4
	s_load_dword s35, s[0:1], 0x200
	s_mov_b32 s23, s30
	s_waitcnt lgkmcnt(0)
	s_mov_b32 s43, s72
	s_mov_b32 s30, s22
	;; [unrolled: 1-line block ×3, first 2 shown]
	v_lshlrev_b32_e32 v88, 2, v85
	v_lshlrev_b32_e32 v89, 2, v83
	s_sub_i32 s20, s67, 32
	s_mul_i32 s53, s70, 12
	s_mul_i32 s22, s71, 12
	s_lshl_b32 s24, s71, 5
	v_lshlrev_b32_e32 v99, 1, v91
	s_lshl_b32 s67, s71, 6
	s_sub_i32 s69, 0, s45
	v_mov_b32_e32 v40, 0
	v_mov_b32_e32 v37, 0
	v_mov_b32_e32 v36, 0
	v_mov_b32_e32 v39, 0
	v_mov_b32_e32 v38, 0
	v_mov_b32_e32 v33, 0
	v_mov_b32_e32 v32, 0
	v_mov_b32_e32 v35, 0
	v_mov_b32_e32 v34, 0
	v_mov_b32_e32 v25, 0
	v_mov_b32_e32 v24, 0
	v_mov_b32_e32 v29, 0
	v_mov_b32_e32 v28, 0
	v_mov_b32_e32 v31, 0
	v_mov_b32_e32 v30, 0
	v_mov_b32_e32 v21, 0
	v_mov_b32_e32 v20, 0
	s_waitcnt vmcnt(3)
	v_cndmask_b32_e64 v0, 0, v5, s[2:3]
	v_cndmask_b32_e64 v4, 0, v4, s[2:3]
	v_cndmask_b32_e64 v3, 0, v3, s[2:3]
	v_cndmask_b32_e64 v2, 0, v2, s[2:3]
	v_cmp_gt_i32_e64 s[2:3], s58, v92
	s_and_b64 s[2:3], s[6:7], s[2:3]
	s_and_b64 s[6:7], s[2:3], s[4:5]
	v_cmp_le_i32_e64 s[2:3], s16, v82
	v_cmp_gt_i32_e64 s[4:5], s17, v82
	s_and_b64 s[2:3], s[2:3], s[4:5]
	s_and_b64 s[2:3], s[6:7], s[2:3]
	s_and_b64 s[2:3], vcc, s[2:3]
	v_cmp_gt_i32_e64 s[4:5], s61, v27
	v_mov_b32_e32 v27, 0
	v_mov_b32_e32 v19, 0
	s_waitcnt vmcnt(2)
	v_cndmask_b32_e64 v5, 0, v9, s[2:3]
	v_cndmask_b32_e64 v8, 0, v8, s[2:3]
	;; [unrolled: 1-line block ×4, first 2 shown]
	v_cmp_gt_i32_e64 s[2:3], s68, v26
	s_and_b64 s[4:5], s[4:5], s[2:3]
	s_lshl_b32 s68, s70, 5
	v_mov_b32_e32 v26, 0
	s_waitcnt vmcnt(1)
	v_cndmask_b32_e64 v9, 0, v13, s[4:5]
	v_cndmask_b32_e64 v12, 0, v12, s[4:5]
	;; [unrolled: 1-line block ×4, first 2 shown]
	v_cmp_gt_i32_e64 s[4:5], s61, v93
	s_and_b64 s[4:5], s[4:5], s[2:3]
	v_mov_b32_e32 v18, 0
	s_waitcnt vmcnt(0)
	v_cndmask_b32_e64 v13, 0, v17, s[4:5]
	v_lshlrev_b32_e32 v17, 2, v22
	v_lshl_or_b32 v90, v23, 9, v17
	v_cndmask_b32_e64 v16, 0, v16, s[4:5]
	v_cndmask_b32_e64 v15, 0, v15, s[4:5]
	;; [unrolled: 1-line block ×3, first 2 shown]
	ds_write2st64_b32 v90, v2, v3 offset1:2
	ds_write2st64_b32 v90, v4, v0 offset0:4 offset1:6
	ds_write2st64_b32 v90, v6, v7 offset0:8 offset1:10
	;; [unrolled: 1-line block ×7, first 2 shown]
	v_or_b32_e32 v0, 36, v23
	v_or_b32_e32 v2, 32, v23
	;; [unrolled: 1-line block ×4, first 2 shown]
	v_mul_lo_u32 v94, s71, v0
	v_mul_lo_u32 v95, s71, v2
	;; [unrolled: 1-line block ×8, first 2 shown]
	v_lshlrev_b32_e32 v98, 1, v94
	v_lshlrev_b32_e32 v100, 1, v95
	v_mov_b32_e32 v23, 0
	v_mov_b32_e32 v22, 0
	v_mov_b32_e32 v17, 0
	v_mov_b32_e32 v16, 0
	v_mov_b32_e32 v53, 0
	v_mov_b32_e32 v52, 0
	v_mov_b32_e32 v55, 0
	v_mov_b32_e32 v54, 0
	v_mov_b32_e32 v49, 0
	v_mov_b32_e32 v48, 0
	v_mov_b32_e32 v51, 0
	v_mov_b32_e32 v50, 0
	v_mov_b32_e32 v57, 0
	v_mov_b32_e32 v56, 0
	v_mov_b32_e32 v59, 0
	v_mov_b32_e32 v58, 0
	v_mov_b32_e32 v61, 0
	v_mov_b32_e32 v60, 0
	v_mov_b32_e32 v63, 0
	v_mov_b32_e32 v62, 0
	v_mov_b32_e32 v69, 0
	v_mov_b32_e32 v68, 0
	v_mov_b32_e32 v71, 0
	v_mov_b32_e32 v70, 0
	v_mov_b32_e32 v65, 0
	v_mov_b32_e32 v64, 0
	v_mov_b32_e32 v67, 0
	v_mov_b32_e32 v66, 0
	v_mov_b32_e32 v73, 0
	v_mov_b32_e32 v72, 0
	v_mov_b32_e32 v75, 0
	v_mov_b32_e32 v74, 0
	v_mov_b32_e32 v77, 0
	v_mov_b32_e32 v76, 0
	v_mov_b32_e32 v79, 0
	v_mov_b32_e32 v78, 0
	v_mov_b32_e32 v41, 0
	v_mov_b32_e32 v46, 0
	v_mov_b32_e32 v47, 0
	v_mov_b32_e32 v44, 0
	v_mov_b32_e32 v45, 0
	v_mov_b32_e32 v42, 0
	v_mov_b32_e32 v43, 0
	s_mov_b32 s70, 0
	v_lshlrev_b32_e32 v105, 1, v96
	v_lshlrev_b32_e32 v106, 1, v97
	v_mov_b32_e32 v107, v104
	v_mov_b32_e32 v108, v103
	;; [unrolled: 1-line block ×5, first 2 shown]
.LBB5_1:                                ; =>This Inner Loop Header: Depth=1
	v_mul_hi_u32 v0, s47, v110
	v_add_u32_e32 v112, s66, v101
	v_add_u32_e32 v0, v112, v0
	v_lshrrev_b32_e32 v2, s49, v0
	v_mul_lo_u32 v3, s69, v2
	v_sub_u32_e32 v0, v3, v1
	v_add_u32_e32 v0, v112, v0
	v_mad_u64_u32 v[0:1], s[4:5], v0, s27, v[80:81]
	v_mul_hi_u32 v1, v2, s46
	v_add_u32_e32 v1, v2, v1
	v_lshrrev_b32_e32 v1, s48, v1
	v_mul_lo_u32 v4, v1, s44
	v_sub_u32_e32 v2, v2, v4
	v_sub_u32_e32 v4, v1, v86
	v_mul_lo_u32 v113, v4, s23
	v_sub_u32_e32 v4, v2, v87
	v_mul_lo_u32 v114, v4, s43
	v_mul_lo_u32 v4, v113, s25
	;; [unrolled: 1-line block ×3, first 2 shown]
	v_add3_u32 v4, v0, v4, v5
	v_mul_hi_u32 v0, s47, v109
	v_add_u32_e32 v80, s66, v102
	v_add_u32_e32 v0, v80, v0
	v_lshrrev_b32_e32 v0, s49, v0
	v_mul_hi_u32 v5, v0, s46
	v_add_u32_e32 v5, v0, v5
	v_lshrrev_b32_e32 v115, s48, v5
	v_add_u32_e32 v3, v112, v3
	v_mul_lo_u32 v5, v115, s44
	v_mad_u64_u32 v[86:87], s[4:5], s69, v0, v[80:81]
	v_sub_u32_e32 v116, v0, v5
	v_sub_u32_e32 v0, v86, v3
	;; [unrolled: 1-line block ×3, first 2 shown]
	v_mul_lo_u32 v87, v1, s23
	v_sub_u32_e32 v2, v116, v2
	v_mul_lo_u32 v0, v0, s27
	v_mad_u64_u32 v[0:1], s[4:5], v87, s25, v[0:1]
	v_mul_lo_u32 v118, v2, s43
	v_mul_lo_u32 v1, v118, s26
	v_add3_u32 v117, v0, v4, v1
	v_lshlrev_b32_e32 v0, 1, v4
	v_add_u32_e32 v1, v106, v99
	v_add_u32_e32 v2, v105, v99
	v_lshlrev_b32_e32 v3, 1, v117
	buffer_load_dwordx4 v[12:15], v1, s[28:31], 0 offen
	buffer_load_dwordx4 v[8:11], v2, s[28:31], 0 offen
	buffer_load_dwordx4 v[4:7], v0, s[36:39], 0 offen
	s_nop 0
	buffer_load_dwordx4 v[0:3], v3, s[36:39], 0 offen
	s_waitcnt lgkmcnt(0)
	s_barrier
	ds_read_b128 v[120:123], v88
	ds_read_b128 v[124:127], v89 offset:16384
	ds_read_b128 v[128:131], v89 offset:16640
	;; [unrolled: 1-line block ×3, first 2 shown]
	v_mul_hi_u32 v119, s47, v108
	v_add_u32_e32 v84, s66, v103
	s_waitcnt lgkmcnt(2)
	v_dot2c_f32_f16_e32 v78, v120, v124
	v_dot2c_f32_f16_e32 v79, v120, v125
	v_dot2c_f32_f16_e32 v76, v120, v126
	v_dot2c_f32_f16_e32 v77, v120, v127
	v_dot2c_f32_f16_e32 v66, v121, v124
	v_dot2c_f32_f16_e32 v67, v121, v125
	v_dot2c_f32_f16_e32 v64, v121, v126
	v_dot2c_f32_f16_e32 v65, v121, v127
	v_dot2c_f32_f16_e32 v62, v122, v124
	v_dot2c_f32_f16_e32 v63, v122, v125
	v_dot2c_f32_f16_e32 v60, v122, v126
	v_dot2c_f32_f16_e32 v61, v122, v127
	v_dot2c_f32_f16_e32 v50, v123, v124
	v_dot2c_f32_f16_e32 v51, v123, v125
	v_dot2c_f32_f16_e32 v48, v123, v126
	v_dot2c_f32_f16_e32 v49, v123, v127
	s_waitcnt lgkmcnt(1)
	v_dot2c_f32_f16_e32 v74, v120, v128
	v_dot2c_f32_f16_e32 v75, v120, v129
	v_dot2c_f32_f16_e32 v72, v120, v130
	v_dot2c_f32_f16_e32 v73, v120, v131
	v_dot2c_f32_f16_e32 v70, v121, v128
	v_dot2c_f32_f16_e32 v71, v121, v129
	v_dot2c_f32_f16_e32 v68, v121, v130
	v_dot2c_f32_f16_e32 v69, v121, v131
	v_dot2c_f32_f16_e32 v58, v122, v128
	v_dot2c_f32_f16_e32 v59, v122, v129
	v_dot2c_f32_f16_e32 v56, v122, v130
	v_dot2c_f32_f16_e32 v57, v122, v131
	v_dot2c_f32_f16_e32 v54, v123, v128
	v_dot2c_f32_f16_e32 v55, v123, v129
	v_dot2c_f32_f16_e32 v52, v123, v130
	v_dot2c_f32_f16_e32 v53, v123, v131
	;; [unrolled: 17-line block ×3, first 2 shown]
	v_dot2c_f32_f16_e32 v22, v132, v128
	v_dot2c_f32_f16_e32 v23, v132, v129
	;; [unrolled: 1-line block ×16, first 2 shown]
	ds_read_b128 v[120:123], v88 offset:512
	ds_read_b128 v[124:127], v89 offset:16896
	;; [unrolled: 1-line block ×4, first 2 shown]
	v_add_u32_e32 v119, v84, v119
	v_lshrrev_b32_e32 v119, s49, v119
	s_waitcnt lgkmcnt(2)
	v_dot2c_f32_f16_e32 v78, v120, v124
	v_dot2c_f32_f16_e32 v79, v120, v125
	v_dot2c_f32_f16_e32 v76, v120, v126
	v_dot2c_f32_f16_e32 v77, v120, v127
	v_dot2c_f32_f16_e32 v66, v121, v124
	v_dot2c_f32_f16_e32 v67, v121, v125
	v_dot2c_f32_f16_e32 v64, v121, v126
	v_dot2c_f32_f16_e32 v65, v121, v127
	v_dot2c_f32_f16_e32 v62, v122, v124
	v_dot2c_f32_f16_e32 v63, v122, v125
	v_dot2c_f32_f16_e32 v60, v122, v126
	v_dot2c_f32_f16_e32 v61, v122, v127
	v_dot2c_f32_f16_e32 v50, v123, v124
	v_dot2c_f32_f16_e32 v51, v123, v125
	v_dot2c_f32_f16_e32 v48, v123, v126
	v_dot2c_f32_f16_e32 v49, v123, v127
	s_waitcnt lgkmcnt(1)
	v_dot2c_f32_f16_e32 v74, v120, v128
	v_dot2c_f32_f16_e32 v75, v120, v129
	v_dot2c_f32_f16_e32 v72, v120, v130
	v_dot2c_f32_f16_e32 v73, v120, v131
	v_dot2c_f32_f16_e32 v70, v121, v128
	v_dot2c_f32_f16_e32 v71, v121, v129
	v_dot2c_f32_f16_e32 v68, v121, v130
	v_dot2c_f32_f16_e32 v69, v121, v131
	v_dot2c_f32_f16_e32 v58, v122, v128
	v_dot2c_f32_f16_e32 v59, v122, v129
	v_dot2c_f32_f16_e32 v56, v122, v130
	v_dot2c_f32_f16_e32 v57, v122, v131
	v_dot2c_f32_f16_e32 v54, v123, v128
	v_dot2c_f32_f16_e32 v55, v123, v129
	v_dot2c_f32_f16_e32 v52, v123, v130
	v_dot2c_f32_f16_e32 v53, v123, v131
	;; [unrolled: 17-line block ×3, first 2 shown]
	v_dot2c_f32_f16_e32 v22, v132, v128
	v_dot2c_f32_f16_e32 v23, v132, v129
	;; [unrolled: 1-line block ×16, first 2 shown]
	ds_read_b128 v[120:123], v88 offset:1024
	ds_read_b128 v[124:127], v89 offset:17408
	;; [unrolled: 1-line block ×4, first 2 shown]
	v_add_u32_e32 v82, v113, v82
	v_add_u32_e32 v81, v114, v81
	s_waitcnt lgkmcnt(2)
	v_dot2c_f32_f16_e32 v78, v120, v124
	v_dot2c_f32_f16_e32 v79, v120, v125
	v_dot2c_f32_f16_e32 v76, v120, v126
	v_dot2c_f32_f16_e32 v77, v120, v127
	v_dot2c_f32_f16_e32 v66, v121, v124
	v_dot2c_f32_f16_e32 v67, v121, v125
	v_dot2c_f32_f16_e32 v64, v121, v126
	v_dot2c_f32_f16_e32 v65, v121, v127
	v_dot2c_f32_f16_e32 v62, v122, v124
	v_dot2c_f32_f16_e32 v63, v122, v125
	v_dot2c_f32_f16_e32 v60, v122, v126
	v_dot2c_f32_f16_e32 v61, v122, v127
	v_dot2c_f32_f16_e32 v50, v123, v124
	v_dot2c_f32_f16_e32 v51, v123, v125
	v_dot2c_f32_f16_e32 v48, v123, v126
	v_dot2c_f32_f16_e32 v49, v123, v127
	s_waitcnt lgkmcnt(1)
	v_dot2c_f32_f16_e32 v74, v120, v128
	v_dot2c_f32_f16_e32 v75, v120, v129
	v_dot2c_f32_f16_e32 v72, v120, v130
	v_dot2c_f32_f16_e32 v73, v120, v131
	v_dot2c_f32_f16_e32 v70, v121, v128
	v_dot2c_f32_f16_e32 v71, v121, v129
	v_dot2c_f32_f16_e32 v68, v121, v130
	v_dot2c_f32_f16_e32 v69, v121, v131
	v_dot2c_f32_f16_e32 v58, v122, v128
	v_dot2c_f32_f16_e32 v59, v122, v129
	v_dot2c_f32_f16_e32 v56, v122, v130
	v_dot2c_f32_f16_e32 v57, v122, v131
	v_dot2c_f32_f16_e32 v54, v123, v128
	v_dot2c_f32_f16_e32 v55, v123, v129
	v_dot2c_f32_f16_e32 v52, v123, v130
	v_dot2c_f32_f16_e32 v53, v123, v131
	;; [unrolled: 17-line block ×3, first 2 shown]
	v_dot2c_f32_f16_e32 v22, v132, v128
	v_dot2c_f32_f16_e32 v23, v132, v129
	;; [unrolled: 1-line block ×16, first 2 shown]
	ds_read_b128 v[120:123], v88 offset:1536
	ds_read_b128 v[124:127], v89 offset:17920
	;; [unrolled: 1-line block ×4, first 2 shown]
	v_cmp_le_i32_e64 s[6:7], s16, v82
	v_cmp_gt_i32_e64 s[8:9], s17, v82
	s_waitcnt lgkmcnt(2)
	v_dot2c_f32_f16_e32 v78, v120, v124
	v_dot2c_f32_f16_e32 v79, v120, v125
	v_dot2c_f32_f16_e32 v76, v120, v126
	v_dot2c_f32_f16_e32 v77, v120, v127
	v_dot2c_f32_f16_e32 v66, v121, v124
	v_dot2c_f32_f16_e32 v67, v121, v125
	v_dot2c_f32_f16_e32 v64, v121, v126
	v_dot2c_f32_f16_e32 v65, v121, v127
	v_dot2c_f32_f16_e32 v62, v122, v124
	v_dot2c_f32_f16_e32 v63, v122, v125
	v_dot2c_f32_f16_e32 v60, v122, v126
	v_dot2c_f32_f16_e32 v61, v122, v127
	v_dot2c_f32_f16_e32 v50, v123, v124
	v_dot2c_f32_f16_e32 v51, v123, v125
	v_dot2c_f32_f16_e32 v48, v123, v126
	v_dot2c_f32_f16_e32 v49, v123, v127
	s_waitcnt lgkmcnt(1)
	v_dot2c_f32_f16_e32 v74, v120, v128
	v_dot2c_f32_f16_e32 v75, v120, v129
	v_dot2c_f32_f16_e32 v72, v120, v130
	v_dot2c_f32_f16_e32 v73, v120, v131
	v_dot2c_f32_f16_e32 v70, v121, v128
	v_dot2c_f32_f16_e32 v71, v121, v129
	v_dot2c_f32_f16_e32 v68, v121, v130
	v_dot2c_f32_f16_e32 v69, v121, v131
	v_dot2c_f32_f16_e32 v58, v122, v128
	v_dot2c_f32_f16_e32 v59, v122, v129
	v_dot2c_f32_f16_e32 v56, v122, v130
	v_dot2c_f32_f16_e32 v57, v122, v131
	v_dot2c_f32_f16_e32 v54, v123, v128
	v_dot2c_f32_f16_e32 v55, v123, v129
	v_dot2c_f32_f16_e32 v52, v123, v130
	v_dot2c_f32_f16_e32 v53, v123, v131
	;; [unrolled: 17-line block ×3, first 2 shown]
	v_dot2c_f32_f16_e32 v22, v132, v128
	v_dot2c_f32_f16_e32 v23, v132, v129
	;; [unrolled: 1-line block ×16, first 2 shown]
	ds_read_b128 v[120:123], v88 offset:2048
	ds_read_b128 v[124:127], v89 offset:18432
	;; [unrolled: 1-line block ×4, first 2 shown]
	s_and_b64 s[10:11], s[6:7], s[8:9]
	v_cmp_gt_i32_e64 s[8:9], s21, v81
	s_waitcnt lgkmcnt(2)
	v_dot2c_f32_f16_e32 v78, v120, v124
	v_dot2c_f32_f16_e32 v79, v120, v125
	v_dot2c_f32_f16_e32 v76, v120, v126
	v_dot2c_f32_f16_e32 v77, v120, v127
	v_dot2c_f32_f16_e32 v66, v121, v124
	v_dot2c_f32_f16_e32 v67, v121, v125
	v_dot2c_f32_f16_e32 v64, v121, v126
	v_dot2c_f32_f16_e32 v65, v121, v127
	v_dot2c_f32_f16_e32 v62, v122, v124
	v_dot2c_f32_f16_e32 v63, v122, v125
	v_dot2c_f32_f16_e32 v60, v122, v126
	v_dot2c_f32_f16_e32 v61, v122, v127
	v_dot2c_f32_f16_e32 v50, v123, v124
	v_dot2c_f32_f16_e32 v51, v123, v125
	v_dot2c_f32_f16_e32 v48, v123, v126
	v_dot2c_f32_f16_e32 v49, v123, v127
	s_waitcnt lgkmcnt(1)
	v_dot2c_f32_f16_e32 v74, v120, v128
	v_dot2c_f32_f16_e32 v75, v120, v129
	v_dot2c_f32_f16_e32 v72, v120, v130
	v_dot2c_f32_f16_e32 v73, v120, v131
	v_dot2c_f32_f16_e32 v70, v121, v128
	v_dot2c_f32_f16_e32 v71, v121, v129
	v_dot2c_f32_f16_e32 v68, v121, v130
	v_dot2c_f32_f16_e32 v69, v121, v131
	v_dot2c_f32_f16_e32 v58, v122, v128
	v_dot2c_f32_f16_e32 v59, v122, v129
	v_dot2c_f32_f16_e32 v56, v122, v130
	v_dot2c_f32_f16_e32 v57, v122, v131
	v_dot2c_f32_f16_e32 v54, v123, v128
	v_dot2c_f32_f16_e32 v55, v123, v129
	v_dot2c_f32_f16_e32 v52, v123, v130
	v_dot2c_f32_f16_e32 v53, v123, v131
	;; [unrolled: 17-line block ×3, first 2 shown]
	v_dot2c_f32_f16_e32 v22, v132, v128
	v_dot2c_f32_f16_e32 v23, v132, v129
	;; [unrolled: 1-line block ×16, first 2 shown]
	ds_read_b128 v[120:123], v88 offset:2560
	ds_read_b128 v[124:127], v89 offset:18944
	ds_read_b128 v[128:131], v89 offset:19200
	ds_read_b128 v[132:135], v88 offset:2816
	v_cmp_le_i32_e64 s[6:7], s52, v81
	v_add_u32_e32 v118, v118, v81
	s_waitcnt lgkmcnt(2)
	v_dot2c_f32_f16_e32 v78, v120, v124
	v_dot2c_f32_f16_e32 v79, v120, v125
	v_dot2c_f32_f16_e32 v76, v120, v126
	v_dot2c_f32_f16_e32 v77, v120, v127
	v_dot2c_f32_f16_e32 v66, v121, v124
	v_dot2c_f32_f16_e32 v67, v121, v125
	v_dot2c_f32_f16_e32 v64, v121, v126
	v_dot2c_f32_f16_e32 v65, v121, v127
	v_dot2c_f32_f16_e32 v62, v122, v124
	v_dot2c_f32_f16_e32 v63, v122, v125
	v_dot2c_f32_f16_e32 v60, v122, v126
	v_dot2c_f32_f16_e32 v61, v122, v127
	v_dot2c_f32_f16_e32 v50, v123, v124
	v_dot2c_f32_f16_e32 v51, v123, v125
	v_dot2c_f32_f16_e32 v48, v123, v126
	v_dot2c_f32_f16_e32 v49, v123, v127
	s_waitcnt lgkmcnt(1)
	v_dot2c_f32_f16_e32 v74, v120, v128
	v_dot2c_f32_f16_e32 v75, v120, v129
	v_dot2c_f32_f16_e32 v72, v120, v130
	v_dot2c_f32_f16_e32 v73, v120, v131
	v_dot2c_f32_f16_e32 v70, v121, v128
	v_dot2c_f32_f16_e32 v71, v121, v129
	v_dot2c_f32_f16_e32 v68, v121, v130
	v_dot2c_f32_f16_e32 v69, v121, v131
	v_dot2c_f32_f16_e32 v58, v122, v128
	v_dot2c_f32_f16_e32 v59, v122, v129
	v_dot2c_f32_f16_e32 v56, v122, v130
	v_dot2c_f32_f16_e32 v57, v122, v131
	v_dot2c_f32_f16_e32 v54, v123, v128
	v_dot2c_f32_f16_e32 v55, v123, v129
	v_dot2c_f32_f16_e32 v52, v123, v130
	v_dot2c_f32_f16_e32 v53, v123, v131
	;; [unrolled: 17-line block ×3, first 2 shown]
	v_dot2c_f32_f16_e32 v22, v132, v128
	v_dot2c_f32_f16_e32 v23, v132, v129
	;; [unrolled: 1-line block ×16, first 2 shown]
	ds_read_b128 v[120:123], v88 offset:3072
	ds_read_b128 v[124:127], v89 offset:19456
	;; [unrolled: 1-line block ×4, first 2 shown]
	v_add_u32_e32 v81, s66, v104
	s_add_i32 s70, s70, 32
	s_waitcnt lgkmcnt(2)
	v_dot2c_f32_f16_e32 v78, v120, v124
	v_dot2c_f32_f16_e32 v79, v120, v125
	v_dot2c_f32_f16_e32 v76, v120, v126
	v_dot2c_f32_f16_e32 v77, v120, v127
	v_dot2c_f32_f16_e32 v66, v121, v124
	v_dot2c_f32_f16_e32 v67, v121, v125
	v_dot2c_f32_f16_e32 v64, v121, v126
	v_dot2c_f32_f16_e32 v65, v121, v127
	v_dot2c_f32_f16_e32 v62, v122, v124
	v_dot2c_f32_f16_e32 v63, v122, v125
	v_dot2c_f32_f16_e32 v60, v122, v126
	v_dot2c_f32_f16_e32 v61, v122, v127
	v_dot2c_f32_f16_e32 v50, v123, v124
	v_dot2c_f32_f16_e32 v51, v123, v125
	v_dot2c_f32_f16_e32 v48, v123, v126
	v_dot2c_f32_f16_e32 v49, v123, v127
	s_waitcnt lgkmcnt(1)
	v_dot2c_f32_f16_e32 v74, v120, v128
	v_dot2c_f32_f16_e32 v75, v120, v129
	v_dot2c_f32_f16_e32 v72, v120, v130
	v_dot2c_f32_f16_e32 v73, v120, v131
	v_dot2c_f32_f16_e32 v70, v121, v128
	v_dot2c_f32_f16_e32 v71, v121, v129
	v_dot2c_f32_f16_e32 v68, v121, v130
	v_dot2c_f32_f16_e32 v69, v121, v131
	v_dot2c_f32_f16_e32 v58, v122, v128
	v_dot2c_f32_f16_e32 v59, v122, v129
	v_dot2c_f32_f16_e32 v56, v122, v130
	v_dot2c_f32_f16_e32 v57, v122, v131
	v_dot2c_f32_f16_e32 v54, v123, v128
	v_dot2c_f32_f16_e32 v55, v123, v129
	v_dot2c_f32_f16_e32 v52, v123, v130
	v_dot2c_f32_f16_e32 v53, v123, v131
	;; [unrolled: 17-line block ×3, first 2 shown]
	v_dot2c_f32_f16_e32 v22, v132, v128
	v_dot2c_f32_f16_e32 v23, v132, v129
	v_dot2c_f32_f16_e32 v20, v132, v130
	v_dot2c_f32_f16_e32 v21, v132, v131
	v_dot2c_f32_f16_e32 v26, v133, v128
	v_dot2c_f32_f16_e32 v27, v133, v129
	v_dot2c_f32_f16_e32 v24, v133, v130
	v_dot2c_f32_f16_e32 v25, v133, v131
	v_dot2c_f32_f16_e32 v38, v134, v128
	v_dot2c_f32_f16_e32 v39, v134, v129
	v_dot2c_f32_f16_e32 v36, v134, v130
	v_dot2c_f32_f16_e32 v37, v134, v131
	v_dot2c_f32_f16_e32 v44, v135, v128
	v_dot2c_f32_f16_e32 v45, v135, v129
	v_dot2c_f32_f16_e32 v42, v135, v130
	v_dot2c_f32_f16_e32 v43, v135, v131
	ds_read_b128 v[120:123], v88 offset:3584
	ds_read_b128 v[124:127], v89 offset:19968
	;; [unrolled: 1-line block ×4, first 2 shown]
	s_add_i32 s66, s66, s68
	v_add_u32_e32 v110, s68, v110
	s_waitcnt lgkmcnt(2)
	v_dot2c_f32_f16_e32 v78, v120, v124
	v_dot2c_f32_f16_e32 v79, v120, v125
	v_dot2c_f32_f16_e32 v76, v120, v126
	v_dot2c_f32_f16_e32 v77, v120, v127
	v_dot2c_f32_f16_e32 v66, v121, v124
	v_dot2c_f32_f16_e32 v67, v121, v125
	v_dot2c_f32_f16_e32 v64, v121, v126
	v_dot2c_f32_f16_e32 v65, v121, v127
	v_dot2c_f32_f16_e32 v62, v122, v124
	v_dot2c_f32_f16_e32 v63, v122, v125
	v_dot2c_f32_f16_e32 v60, v122, v126
	v_dot2c_f32_f16_e32 v61, v122, v127
	v_dot2c_f32_f16_e32 v50, v123, v124
	v_dot2c_f32_f16_e32 v51, v123, v125
	v_dot2c_f32_f16_e32 v48, v123, v126
	v_dot2c_f32_f16_e32 v49, v123, v127
	s_waitcnt lgkmcnt(1)
	v_dot2c_f32_f16_e32 v74, v120, v128
	v_dot2c_f32_f16_e32 v75, v120, v129
	v_dot2c_f32_f16_e32 v72, v120, v130
	v_dot2c_f32_f16_e32 v73, v120, v131
	v_dot2c_f32_f16_e32 v70, v121, v128
	v_dot2c_f32_f16_e32 v71, v121, v129
	v_dot2c_f32_f16_e32 v68, v121, v130
	v_dot2c_f32_f16_e32 v69, v121, v131
	v_dot2c_f32_f16_e32 v58, v122, v128
	v_dot2c_f32_f16_e32 v59, v122, v129
	v_dot2c_f32_f16_e32 v56, v122, v130
	v_dot2c_f32_f16_e32 v57, v122, v131
	v_dot2c_f32_f16_e32 v54, v123, v128
	v_dot2c_f32_f16_e32 v55, v123, v129
	v_dot2c_f32_f16_e32 v52, v123, v130
	v_dot2c_f32_f16_e32 v53, v123, v131
	;; [unrolled: 17-line block ×3, first 2 shown]
	v_dot2c_f32_f16_e32 v22, v132, v128
	v_dot2c_f32_f16_e32 v23, v132, v129
	;; [unrolled: 1-line block ×16, first 2 shown]
	ds_read_b128 v[120:123], v88 offset:4096
	ds_read_b128 v[124:127], v89 offset:20480
	ds_read_b128 v[128:131], v89 offset:20736
	ds_read_b128 v[132:135], v88 offset:4352
	v_add_u32_e32 v109, s68, v109
	v_add_u32_e32 v108, s68, v108
	s_waitcnt lgkmcnt(2)
	v_dot2c_f32_f16_e32 v78, v120, v124
	v_dot2c_f32_f16_e32 v79, v120, v125
	v_dot2c_f32_f16_e32 v76, v120, v126
	v_dot2c_f32_f16_e32 v77, v120, v127
	v_dot2c_f32_f16_e32 v66, v121, v124
	v_dot2c_f32_f16_e32 v67, v121, v125
	v_dot2c_f32_f16_e32 v64, v121, v126
	v_dot2c_f32_f16_e32 v65, v121, v127
	v_dot2c_f32_f16_e32 v62, v122, v124
	v_dot2c_f32_f16_e32 v63, v122, v125
	v_dot2c_f32_f16_e32 v60, v122, v126
	v_dot2c_f32_f16_e32 v61, v122, v127
	v_dot2c_f32_f16_e32 v50, v123, v124
	v_dot2c_f32_f16_e32 v51, v123, v125
	v_dot2c_f32_f16_e32 v48, v123, v126
	v_dot2c_f32_f16_e32 v49, v123, v127
	s_waitcnt lgkmcnt(1)
	v_dot2c_f32_f16_e32 v74, v120, v128
	v_dot2c_f32_f16_e32 v75, v120, v129
	v_dot2c_f32_f16_e32 v72, v120, v130
	v_dot2c_f32_f16_e32 v73, v120, v131
	v_dot2c_f32_f16_e32 v70, v121, v128
	v_dot2c_f32_f16_e32 v71, v121, v129
	v_dot2c_f32_f16_e32 v68, v121, v130
	v_dot2c_f32_f16_e32 v69, v121, v131
	v_dot2c_f32_f16_e32 v58, v122, v128
	v_dot2c_f32_f16_e32 v59, v122, v129
	v_dot2c_f32_f16_e32 v56, v122, v130
	v_dot2c_f32_f16_e32 v57, v122, v131
	v_dot2c_f32_f16_e32 v54, v123, v128
	v_dot2c_f32_f16_e32 v55, v123, v129
	v_dot2c_f32_f16_e32 v52, v123, v130
	v_dot2c_f32_f16_e32 v53, v123, v131
	s_waitcnt lgkmcnt(0)
	v_dot2c_f32_f16_e32 v18, v132, v124
	v_dot2c_f32_f16_e32 v19, v132, v125
	v_dot2c_f32_f16_e32 v16, v132, v126
	v_dot2c_f32_f16_e32 v17, v132, v127
	v_dot2c_f32_f16_e32 v30, v133, v124
	v_dot2c_f32_f16_e32 v31, v133, v125
	v_dot2c_f32_f16_e32 v28, v133, v126
	v_dot2c_f32_f16_e32 v29, v133, v127
	v_dot2c_f32_f16_e32 v34, v134, v124
	v_dot2c_f32_f16_e32 v35, v134, v125
	v_dot2c_f32_f16_e32 v32, v134, v126
	v_dot2c_f32_f16_e32 v33, v134, v127
	v_dot2c_f32_f16_e32 v40, v135, v124
	v_dot2c_f32_f16_e32 v41, v135, v125
	v_dot2c_f32_f16_e32 v46, v135, v126
	v_dot2c_f32_f16_e32 v47, v135, v127
	v_dot2c_f32_f16_e32 v22, v132, v128
	v_dot2c_f32_f16_e32 v23, v132, v129
	;; [unrolled: 1-line block ×16, first 2 shown]
	ds_read_b128 v[120:123], v88 offset:4608
	ds_read_b128 v[124:127], v89 offset:20992
	;; [unrolled: 1-line block ×4, first 2 shown]
	s_waitcnt lgkmcnt(2)
	v_dot2c_f32_f16_e32 v78, v120, v124
	v_dot2c_f32_f16_e32 v79, v120, v125
	v_dot2c_f32_f16_e32 v76, v120, v126
	v_dot2c_f32_f16_e32 v77, v120, v127
	v_dot2c_f32_f16_e32 v66, v121, v124
	v_dot2c_f32_f16_e32 v67, v121, v125
	v_dot2c_f32_f16_e32 v64, v121, v126
	v_dot2c_f32_f16_e32 v65, v121, v127
	v_dot2c_f32_f16_e32 v62, v122, v124
	v_dot2c_f32_f16_e32 v63, v122, v125
	v_dot2c_f32_f16_e32 v60, v122, v126
	v_dot2c_f32_f16_e32 v61, v122, v127
	v_dot2c_f32_f16_e32 v50, v123, v124
	v_dot2c_f32_f16_e32 v51, v123, v125
	v_dot2c_f32_f16_e32 v48, v123, v126
	v_dot2c_f32_f16_e32 v49, v123, v127
	s_waitcnt lgkmcnt(1)
	v_dot2c_f32_f16_e32 v74, v120, v128
	v_dot2c_f32_f16_e32 v75, v120, v129
	v_dot2c_f32_f16_e32 v72, v120, v130
	v_dot2c_f32_f16_e32 v73, v120, v131
	v_dot2c_f32_f16_e32 v70, v121, v128
	v_dot2c_f32_f16_e32 v71, v121, v129
	v_dot2c_f32_f16_e32 v68, v121, v130
	v_dot2c_f32_f16_e32 v69, v121, v131
	v_dot2c_f32_f16_e32 v58, v122, v128
	v_dot2c_f32_f16_e32 v59, v122, v129
	v_dot2c_f32_f16_e32 v56, v122, v130
	v_dot2c_f32_f16_e32 v57, v122, v131
	v_dot2c_f32_f16_e32 v54, v123, v128
	v_dot2c_f32_f16_e32 v55, v123, v129
	v_dot2c_f32_f16_e32 v52, v123, v130
	v_dot2c_f32_f16_e32 v53, v123, v131
	;; [unrolled: 17-line block ×3, first 2 shown]
	v_dot2c_f32_f16_e32 v22, v132, v128
	v_dot2c_f32_f16_e32 v23, v132, v129
	;; [unrolled: 1-line block ×16, first 2 shown]
	ds_read_b128 v[120:123], v88 offset:5120
	ds_read_b128 v[124:127], v89 offset:21504
	;; [unrolled: 1-line block ×4, first 2 shown]
	s_waitcnt lgkmcnt(2)
	v_dot2c_f32_f16_e32 v78, v120, v124
	v_dot2c_f32_f16_e32 v79, v120, v125
	v_dot2c_f32_f16_e32 v76, v120, v126
	v_dot2c_f32_f16_e32 v77, v120, v127
	v_dot2c_f32_f16_e32 v66, v121, v124
	v_dot2c_f32_f16_e32 v67, v121, v125
	v_dot2c_f32_f16_e32 v64, v121, v126
	v_dot2c_f32_f16_e32 v65, v121, v127
	v_dot2c_f32_f16_e32 v62, v122, v124
	v_dot2c_f32_f16_e32 v63, v122, v125
	v_dot2c_f32_f16_e32 v60, v122, v126
	v_dot2c_f32_f16_e32 v61, v122, v127
	v_dot2c_f32_f16_e32 v50, v123, v124
	v_dot2c_f32_f16_e32 v51, v123, v125
	v_dot2c_f32_f16_e32 v48, v123, v126
	v_dot2c_f32_f16_e32 v49, v123, v127
	s_waitcnt lgkmcnt(1)
	v_dot2c_f32_f16_e32 v74, v120, v128
	v_dot2c_f32_f16_e32 v75, v120, v129
	v_dot2c_f32_f16_e32 v72, v120, v130
	v_dot2c_f32_f16_e32 v73, v120, v131
	v_dot2c_f32_f16_e32 v70, v121, v128
	v_dot2c_f32_f16_e32 v71, v121, v129
	v_dot2c_f32_f16_e32 v68, v121, v130
	v_dot2c_f32_f16_e32 v69, v121, v131
	v_dot2c_f32_f16_e32 v58, v122, v128
	v_dot2c_f32_f16_e32 v59, v122, v129
	v_dot2c_f32_f16_e32 v56, v122, v130
	v_dot2c_f32_f16_e32 v57, v122, v131
	v_dot2c_f32_f16_e32 v54, v123, v128
	v_dot2c_f32_f16_e32 v55, v123, v129
	v_dot2c_f32_f16_e32 v52, v123, v130
	v_dot2c_f32_f16_e32 v53, v123, v131
	;; [unrolled: 17-line block ×3, first 2 shown]
	v_dot2c_f32_f16_e32 v22, v132, v128
	v_dot2c_f32_f16_e32 v23, v132, v129
	;; [unrolled: 1-line block ×16, first 2 shown]
	ds_read_b128 v[120:123], v88 offset:5632
	ds_read_b128 v[124:127], v89 offset:22016
	;; [unrolled: 1-line block ×4, first 2 shown]
	s_waitcnt lgkmcnt(2)
	v_dot2c_f32_f16_e32 v78, v120, v124
	v_dot2c_f32_f16_e32 v79, v120, v125
	v_dot2c_f32_f16_e32 v76, v120, v126
	v_dot2c_f32_f16_e32 v77, v120, v127
	v_dot2c_f32_f16_e32 v66, v121, v124
	v_dot2c_f32_f16_e32 v67, v121, v125
	v_dot2c_f32_f16_e32 v64, v121, v126
	v_dot2c_f32_f16_e32 v65, v121, v127
	v_dot2c_f32_f16_e32 v62, v122, v124
	v_dot2c_f32_f16_e32 v63, v122, v125
	v_dot2c_f32_f16_e32 v60, v122, v126
	v_dot2c_f32_f16_e32 v61, v122, v127
	v_dot2c_f32_f16_e32 v50, v123, v124
	v_dot2c_f32_f16_e32 v51, v123, v125
	v_dot2c_f32_f16_e32 v48, v123, v126
	v_dot2c_f32_f16_e32 v49, v123, v127
	s_waitcnt lgkmcnt(1)
	v_dot2c_f32_f16_e32 v74, v120, v128
	v_dot2c_f32_f16_e32 v75, v120, v129
	v_dot2c_f32_f16_e32 v72, v120, v130
	v_dot2c_f32_f16_e32 v73, v120, v131
	v_dot2c_f32_f16_e32 v70, v121, v128
	v_dot2c_f32_f16_e32 v71, v121, v129
	v_dot2c_f32_f16_e32 v68, v121, v130
	v_dot2c_f32_f16_e32 v69, v121, v131
	v_dot2c_f32_f16_e32 v58, v122, v128
	v_dot2c_f32_f16_e32 v59, v122, v129
	v_dot2c_f32_f16_e32 v56, v122, v130
	v_dot2c_f32_f16_e32 v57, v122, v131
	v_dot2c_f32_f16_e32 v54, v123, v128
	v_dot2c_f32_f16_e32 v55, v123, v129
	v_dot2c_f32_f16_e32 v52, v123, v130
	v_dot2c_f32_f16_e32 v53, v123, v131
	;; [unrolled: 17-line block ×3, first 2 shown]
	v_dot2c_f32_f16_e32 v22, v132, v128
	v_dot2c_f32_f16_e32 v23, v132, v129
	;; [unrolled: 1-line block ×16, first 2 shown]
	ds_read_b128 v[120:123], v88 offset:6144
	ds_read_b128 v[124:127], v89 offset:22528
	;; [unrolled: 1-line block ×4, first 2 shown]
	s_waitcnt lgkmcnt(2)
	v_dot2c_f32_f16_e32 v78, v120, v124
	v_dot2c_f32_f16_e32 v79, v120, v125
	v_dot2c_f32_f16_e32 v76, v120, v126
	v_dot2c_f32_f16_e32 v77, v120, v127
	v_dot2c_f32_f16_e32 v66, v121, v124
	v_dot2c_f32_f16_e32 v67, v121, v125
	v_dot2c_f32_f16_e32 v64, v121, v126
	v_dot2c_f32_f16_e32 v65, v121, v127
	v_dot2c_f32_f16_e32 v62, v122, v124
	v_dot2c_f32_f16_e32 v63, v122, v125
	v_dot2c_f32_f16_e32 v60, v122, v126
	v_dot2c_f32_f16_e32 v61, v122, v127
	v_dot2c_f32_f16_e32 v50, v123, v124
	v_dot2c_f32_f16_e32 v51, v123, v125
	v_dot2c_f32_f16_e32 v48, v123, v126
	v_dot2c_f32_f16_e32 v49, v123, v127
	s_waitcnt lgkmcnt(1)
	v_dot2c_f32_f16_e32 v74, v120, v128
	v_dot2c_f32_f16_e32 v75, v120, v129
	v_dot2c_f32_f16_e32 v72, v120, v130
	v_dot2c_f32_f16_e32 v73, v120, v131
	v_dot2c_f32_f16_e32 v70, v121, v128
	v_dot2c_f32_f16_e32 v71, v121, v129
	v_dot2c_f32_f16_e32 v68, v121, v130
	v_dot2c_f32_f16_e32 v69, v121, v131
	v_dot2c_f32_f16_e32 v58, v122, v128
	v_dot2c_f32_f16_e32 v59, v122, v129
	v_dot2c_f32_f16_e32 v56, v122, v130
	v_dot2c_f32_f16_e32 v57, v122, v131
	v_dot2c_f32_f16_e32 v54, v123, v128
	v_dot2c_f32_f16_e32 v55, v123, v129
	v_dot2c_f32_f16_e32 v52, v123, v130
	v_dot2c_f32_f16_e32 v53, v123, v131
	;; [unrolled: 17-line block ×3, first 2 shown]
	v_dot2c_f32_f16_e32 v22, v132, v128
	v_dot2c_f32_f16_e32 v23, v132, v129
	;; [unrolled: 1-line block ×16, first 2 shown]
	ds_read_b128 v[120:123], v88 offset:6656
	ds_read_b128 v[124:127], v89 offset:23040
	;; [unrolled: 1-line block ×4, first 2 shown]
	s_waitcnt lgkmcnt(2)
	v_dot2c_f32_f16_e32 v78, v120, v124
	v_dot2c_f32_f16_e32 v79, v120, v125
	v_dot2c_f32_f16_e32 v76, v120, v126
	v_dot2c_f32_f16_e32 v77, v120, v127
	v_dot2c_f32_f16_e32 v66, v121, v124
	v_dot2c_f32_f16_e32 v67, v121, v125
	v_dot2c_f32_f16_e32 v64, v121, v126
	v_dot2c_f32_f16_e32 v65, v121, v127
	v_dot2c_f32_f16_e32 v62, v122, v124
	v_dot2c_f32_f16_e32 v63, v122, v125
	v_dot2c_f32_f16_e32 v60, v122, v126
	v_dot2c_f32_f16_e32 v61, v122, v127
	v_dot2c_f32_f16_e32 v50, v123, v124
	v_dot2c_f32_f16_e32 v51, v123, v125
	v_dot2c_f32_f16_e32 v48, v123, v126
	v_dot2c_f32_f16_e32 v49, v123, v127
	s_waitcnt lgkmcnt(1)
	v_dot2c_f32_f16_e32 v74, v120, v128
	v_dot2c_f32_f16_e32 v75, v120, v129
	v_dot2c_f32_f16_e32 v72, v120, v130
	v_dot2c_f32_f16_e32 v73, v120, v131
	v_dot2c_f32_f16_e32 v70, v121, v128
	v_dot2c_f32_f16_e32 v71, v121, v129
	v_dot2c_f32_f16_e32 v68, v121, v130
	v_dot2c_f32_f16_e32 v69, v121, v131
	v_dot2c_f32_f16_e32 v58, v122, v128
	v_dot2c_f32_f16_e32 v59, v122, v129
	v_dot2c_f32_f16_e32 v56, v122, v130
	v_dot2c_f32_f16_e32 v57, v122, v131
	v_dot2c_f32_f16_e32 v54, v123, v128
	v_dot2c_f32_f16_e32 v55, v123, v129
	v_dot2c_f32_f16_e32 v52, v123, v130
	v_dot2c_f32_f16_e32 v53, v123, v131
	;; [unrolled: 17-line block ×3, first 2 shown]
	v_dot2c_f32_f16_e32 v22, v132, v128
	v_dot2c_f32_f16_e32 v23, v132, v129
	;; [unrolled: 1-line block ×16, first 2 shown]
	ds_read_b128 v[120:123], v88 offset:7168
	ds_read_b128 v[124:127], v89 offset:23552
	;; [unrolled: 1-line block ×4, first 2 shown]
	s_waitcnt lgkmcnt(2)
	v_dot2c_f32_f16_e32 v78, v120, v124
	v_dot2c_f32_f16_e32 v79, v120, v125
	v_dot2c_f32_f16_e32 v76, v120, v126
	v_dot2c_f32_f16_e32 v77, v120, v127
	v_dot2c_f32_f16_e32 v66, v121, v124
	v_dot2c_f32_f16_e32 v67, v121, v125
	v_dot2c_f32_f16_e32 v64, v121, v126
	v_dot2c_f32_f16_e32 v65, v121, v127
	v_dot2c_f32_f16_e32 v62, v122, v124
	v_dot2c_f32_f16_e32 v63, v122, v125
	v_dot2c_f32_f16_e32 v60, v122, v126
	v_dot2c_f32_f16_e32 v61, v122, v127
	v_dot2c_f32_f16_e32 v50, v123, v124
	v_dot2c_f32_f16_e32 v51, v123, v125
	v_dot2c_f32_f16_e32 v48, v123, v126
	v_dot2c_f32_f16_e32 v49, v123, v127
	s_waitcnt lgkmcnt(1)
	v_dot2c_f32_f16_e32 v74, v120, v128
	v_dot2c_f32_f16_e32 v75, v120, v129
	v_dot2c_f32_f16_e32 v72, v120, v130
	v_dot2c_f32_f16_e32 v73, v120, v131
	v_dot2c_f32_f16_e32 v70, v121, v128
	v_dot2c_f32_f16_e32 v71, v121, v129
	v_dot2c_f32_f16_e32 v68, v121, v130
	v_dot2c_f32_f16_e32 v69, v121, v131
	v_dot2c_f32_f16_e32 v58, v122, v128
	v_dot2c_f32_f16_e32 v59, v122, v129
	v_dot2c_f32_f16_e32 v56, v122, v130
	v_dot2c_f32_f16_e32 v57, v122, v131
	v_dot2c_f32_f16_e32 v54, v123, v128
	v_dot2c_f32_f16_e32 v55, v123, v129
	v_dot2c_f32_f16_e32 v52, v123, v130
	v_dot2c_f32_f16_e32 v53, v123, v131
	;; [unrolled: 17-line block ×3, first 2 shown]
	v_dot2c_f32_f16_e32 v22, v132, v128
	v_dot2c_f32_f16_e32 v23, v132, v129
	;; [unrolled: 1-line block ×16, first 2 shown]
	ds_read_b128 v[120:123], v88 offset:7680
	ds_read_b128 v[124:127], v89 offset:24064
	;; [unrolled: 1-line block ×4, first 2 shown]
	s_waitcnt lgkmcnt(2)
	v_dot2c_f32_f16_e32 v78, v120, v124
	v_dot2c_f32_f16_e32 v79, v120, v125
	;; [unrolled: 1-line block ×8, first 2 shown]
	s_waitcnt lgkmcnt(1)
	v_dot2c_f32_f16_e32 v74, v120, v128
	v_dot2c_f32_f16_e32 v75, v120, v129
	;; [unrolled: 1-line block ×8, first 2 shown]
	v_mad_u64_u32 v[120:121], s[4:5], s69, v119, v[84:85]
	v_mul_hi_u32 v121, v119, s46
	v_add_u32_e32 v121, v119, v121
	v_lshrrev_b32_e32 v121, s48, v121
	v_sub_u32_e32 v86, v120, v86
	v_sub_u32_e32 v115, v121, v115
	v_dot2c_f32_f16_e32 v62, v122, v124
	v_dot2c_f32_f16_e32 v63, v122, v125
	;; [unrolled: 1-line block ×8, first 2 shown]
	v_mul_lo_u32 v122, v121, s44
	v_mul_lo_u32 v115, v115, s23
	;; [unrolled: 1-line block ×3, first 2 shown]
	v_dot2c_f32_f16_e32 v50, v123, v124
	v_dot2c_f32_f16_e32 v51, v123, v125
	v_dot2c_f32_f16_e32 v48, v123, v126
	v_dot2c_f32_f16_e32 v49, v123, v127
	v_dot2c_f32_f16_e32 v54, v123, v128
	v_dot2c_f32_f16_e32 v55, v123, v129
	v_dot2c_f32_f16_e32 v52, v123, v130
	v_dot2c_f32_f16_e32 v53, v123, v131
	v_sub_u32_e32 v119, v119, v122
	v_mad_u64_u32 v[122:123], s[4:5], v115, s25, v[86:87]
	v_cmp_gt_i32_e64 s[4:5], s61, v97
	s_and_b64 s[4:5], s[2:3], s[4:5]
	v_sub_u32_e32 v116, v119, v116
	s_waitcnt vmcnt(3)
	v_cndmask_b32_e64 v15, 0, v15, s[4:5]
	v_cndmask_b32_e64 v14, 0, v14, s[4:5]
	;; [unrolled: 1-line block ×4, first 2 shown]
	v_cmp_gt_i32_e64 s[4:5], s61, v96
	s_and_b64 s[4:5], s[2:3], s[4:5]
	v_mul_lo_u32 v116, v116, s43
	s_waitcnt vmcnt(2)
	v_cndmask_b32_e64 v11, 0, v11, s[4:5]
	v_cndmask_b32_e64 v10, 0, v10, s[4:5]
	;; [unrolled: 1-line block ×4, first 2 shown]
	v_cmp_gt_i32_e64 s[4:5], s58, v112
	s_and_b64 s[4:5], s[8:9], s[4:5]
	v_mul_lo_u32 v86, v116, s26
	s_and_b64 s[4:5], s[4:5], s[6:7]
	v_add3_u32 v122, v122, v86, v117
	s_and_b64 s[4:5], s[10:11], s[4:5]
	v_add_u32_e32 v117, v87, v82
	s_and_b64 s[4:5], vcc, s[4:5]
	v_cmp_le_i32_e64 s[6:7], s16, v117
	v_cmp_gt_i32_e64 s[8:9], s17, v117
	s_waitcnt vmcnt(1)
	v_cndmask_b32_e64 v7, 0, v7, s[4:5]
	v_cndmask_b32_e64 v6, 0, v6, s[4:5]
	v_cndmask_b32_e64 v5, 0, v5, s[4:5]
	v_cndmask_b32_e64 v4, 0, v4, s[4:5]
	v_cmp_gt_i32_e64 s[4:5], s58, v80
	s_and_b64 s[10:11], s[6:7], s[8:9]
	v_cmp_gt_i32_e64 s[8:9], s21, v118
	v_cmp_le_i32_e64 s[6:7], s52, v118
	s_and_b64 s[4:5], s[8:9], s[4:5]
	s_and_b64 s[4:5], s[4:5], s[6:7]
	;; [unrolled: 1-line block ×3, first 2 shown]
	v_mul_hi_u32 v80, s47, v107
	s_and_b64 s[4:5], vcc, s[4:5]
	v_add_u32_e32 v80, v81, v80
	s_waitcnt vmcnt(0)
	v_cndmask_b32_e64 v0, 0, v0, s[4:5]
	v_lshrrev_b32_e32 v113, s49, v80
	v_cndmask_b32_e64 v3, 0, v3, s[4:5]
	v_cndmask_b32_e64 v2, 0, v2, s[4:5]
	;; [unrolled: 1-line block ×3, first 2 shown]
	ds_write2st64_b32 v90, v12, v13 offset0:96 offset1:98
	ds_write2st64_b32 v90, v14, v15 offset0:100 offset1:102
	;; [unrolled: 1-line block ×8, first 2 shown]
	v_mul_hi_u32 v0, v113, s46
	v_add_u32_e32 v0, v113, v0
	v_mul_lo_u32 v112, s69, v113
	v_lshrrev_b32_e32 v86, s48, v0
	v_add_u32_e32 v80, v81, v112
	v_mul_lo_u32 v1, v86, s44
	v_sub_u32_e32 v80, v80, v120
	v_sub_u32_e32 v0, v86, v121
	;; [unrolled: 1-line block ×3, first 2 shown]
	v_mul_lo_u32 v82, v0, s23
	v_sub_u32_e32 v2, v87, v119
	v_mul_lo_u32 v0, v80, s27
	v_mad_u64_u32 v[0:1], s[4:5], v82, s25, v[0:1]
	v_mul_lo_u32 v114, v2, s43
	v_mul_lo_u32 v1, v114, s26
	v_add3_u32 v80, v0, v1, v122
	v_lshlrev_b32_e32 v0, 1, v122
	v_add_u32_e32 v1, v100, v99
	v_add_u32_e32 v2, v98, v99
	v_lshlrev_b32_e32 v3, 1, v80
	buffer_load_dwordx4 v[12:15], v1, s[28:31], 0 offen
	buffer_load_dwordx4 v[8:11], v2, s[28:31], 0 offen
	;; [unrolled: 1-line block ×3, first 2 shown]
	s_nop 0
	buffer_load_dwordx4 v[0:3], v3, s[36:39], 0 offen
	s_waitcnt lgkmcnt(8)
	v_dot2c_f32_f16_e32 v18, v132, v124
	v_dot2c_f32_f16_e32 v19, v132, v125
	;; [unrolled: 1-line block ×32, first 2 shown]
	s_waitcnt lgkmcnt(0)
	s_barrier
	ds_read_b128 v[120:123], v88 offset:8192
	ds_read_b128 v[124:127], v89 offset:24576
	;; [unrolled: 1-line block ×4, first 2 shown]
	v_cmp_gt_i32_e64 s[4:5], s61, v95
	s_and_b64 s[4:5], s[2:3], s[4:5]
	s_waitcnt lgkmcnt(2)
	v_dot2c_f32_f16_e32 v78, v120, v124
	v_dot2c_f32_f16_e32 v79, v120, v125
	v_dot2c_f32_f16_e32 v76, v120, v126
	v_dot2c_f32_f16_e32 v77, v120, v127
	v_dot2c_f32_f16_e32 v66, v121, v124
	v_dot2c_f32_f16_e32 v67, v121, v125
	v_dot2c_f32_f16_e32 v64, v121, v126
	v_dot2c_f32_f16_e32 v65, v121, v127
	v_dot2c_f32_f16_e32 v62, v122, v124
	v_dot2c_f32_f16_e32 v63, v122, v125
	v_dot2c_f32_f16_e32 v60, v122, v126
	v_dot2c_f32_f16_e32 v61, v122, v127
	v_dot2c_f32_f16_e32 v50, v123, v124
	v_dot2c_f32_f16_e32 v51, v123, v125
	v_dot2c_f32_f16_e32 v48, v123, v126
	v_dot2c_f32_f16_e32 v49, v123, v127
	s_waitcnt lgkmcnt(1)
	v_dot2c_f32_f16_e32 v74, v120, v128
	v_dot2c_f32_f16_e32 v75, v120, v129
	v_dot2c_f32_f16_e32 v72, v120, v130
	v_dot2c_f32_f16_e32 v73, v120, v131
	v_dot2c_f32_f16_e32 v70, v121, v128
	v_dot2c_f32_f16_e32 v71, v121, v129
	v_dot2c_f32_f16_e32 v68, v121, v130
	v_dot2c_f32_f16_e32 v69, v121, v131
	v_dot2c_f32_f16_e32 v58, v122, v128
	v_dot2c_f32_f16_e32 v59, v122, v129
	v_dot2c_f32_f16_e32 v56, v122, v130
	v_dot2c_f32_f16_e32 v57, v122, v131
	v_dot2c_f32_f16_e32 v54, v123, v128
	v_dot2c_f32_f16_e32 v55, v123, v129
	v_dot2c_f32_f16_e32 v52, v123, v130
	v_dot2c_f32_f16_e32 v53, v123, v131
	;; [unrolled: 17-line block ×3, first 2 shown]
	v_dot2c_f32_f16_e32 v22, v132, v128
	v_dot2c_f32_f16_e32 v23, v132, v129
	;; [unrolled: 1-line block ×16, first 2 shown]
	ds_read_b128 v[120:123], v88 offset:8704
	ds_read_b128 v[124:127], v89 offset:25088
	;; [unrolled: 1-line block ×4, first 2 shown]
	s_waitcnt vmcnt(3)
	v_cndmask_b32_e64 v15, 0, v15, s[4:5]
	v_cndmask_b32_e64 v14, 0, v14, s[4:5]
	s_waitcnt lgkmcnt(2)
	v_dot2c_f32_f16_e32 v78, v120, v124
	v_dot2c_f32_f16_e32 v79, v120, v125
	v_dot2c_f32_f16_e32 v76, v120, v126
	v_dot2c_f32_f16_e32 v77, v120, v127
	v_dot2c_f32_f16_e32 v66, v121, v124
	v_dot2c_f32_f16_e32 v67, v121, v125
	v_dot2c_f32_f16_e32 v64, v121, v126
	v_dot2c_f32_f16_e32 v65, v121, v127
	v_dot2c_f32_f16_e32 v62, v122, v124
	v_dot2c_f32_f16_e32 v63, v122, v125
	v_dot2c_f32_f16_e32 v60, v122, v126
	v_dot2c_f32_f16_e32 v61, v122, v127
	v_dot2c_f32_f16_e32 v50, v123, v124
	v_dot2c_f32_f16_e32 v51, v123, v125
	v_dot2c_f32_f16_e32 v48, v123, v126
	v_dot2c_f32_f16_e32 v49, v123, v127
	s_waitcnt lgkmcnt(1)
	v_dot2c_f32_f16_e32 v74, v120, v128
	v_dot2c_f32_f16_e32 v75, v120, v129
	v_dot2c_f32_f16_e32 v72, v120, v130
	v_dot2c_f32_f16_e32 v73, v120, v131
	v_dot2c_f32_f16_e32 v70, v121, v128
	v_dot2c_f32_f16_e32 v71, v121, v129
	v_dot2c_f32_f16_e32 v68, v121, v130
	v_dot2c_f32_f16_e32 v69, v121, v131
	v_dot2c_f32_f16_e32 v58, v122, v128
	v_dot2c_f32_f16_e32 v59, v122, v129
	v_dot2c_f32_f16_e32 v56, v122, v130
	v_dot2c_f32_f16_e32 v57, v122, v131
	v_dot2c_f32_f16_e32 v54, v123, v128
	v_dot2c_f32_f16_e32 v55, v123, v129
	v_dot2c_f32_f16_e32 v52, v123, v130
	v_dot2c_f32_f16_e32 v53, v123, v131
	;; [unrolled: 17-line block ×3, first 2 shown]
	v_dot2c_f32_f16_e32 v22, v132, v128
	v_dot2c_f32_f16_e32 v23, v132, v129
	;; [unrolled: 1-line block ×16, first 2 shown]
	ds_read_b128 v[120:123], v88 offset:9216
	ds_read_b128 v[124:127], v89 offset:25600
	;; [unrolled: 1-line block ×4, first 2 shown]
	v_cndmask_b32_e64 v13, 0, v13, s[4:5]
	v_cndmask_b32_e64 v12, 0, v12, s[4:5]
	s_waitcnt lgkmcnt(2)
	v_dot2c_f32_f16_e32 v78, v120, v124
	v_dot2c_f32_f16_e32 v79, v120, v125
	v_dot2c_f32_f16_e32 v76, v120, v126
	v_dot2c_f32_f16_e32 v77, v120, v127
	v_dot2c_f32_f16_e32 v66, v121, v124
	v_dot2c_f32_f16_e32 v67, v121, v125
	v_dot2c_f32_f16_e32 v64, v121, v126
	v_dot2c_f32_f16_e32 v65, v121, v127
	v_dot2c_f32_f16_e32 v62, v122, v124
	v_dot2c_f32_f16_e32 v63, v122, v125
	v_dot2c_f32_f16_e32 v60, v122, v126
	v_dot2c_f32_f16_e32 v61, v122, v127
	v_dot2c_f32_f16_e32 v50, v123, v124
	v_dot2c_f32_f16_e32 v51, v123, v125
	v_dot2c_f32_f16_e32 v48, v123, v126
	v_dot2c_f32_f16_e32 v49, v123, v127
	s_waitcnt lgkmcnt(1)
	v_dot2c_f32_f16_e32 v74, v120, v128
	v_dot2c_f32_f16_e32 v75, v120, v129
	v_dot2c_f32_f16_e32 v72, v120, v130
	v_dot2c_f32_f16_e32 v73, v120, v131
	v_dot2c_f32_f16_e32 v70, v121, v128
	v_dot2c_f32_f16_e32 v71, v121, v129
	v_dot2c_f32_f16_e32 v68, v121, v130
	v_dot2c_f32_f16_e32 v69, v121, v131
	v_dot2c_f32_f16_e32 v58, v122, v128
	v_dot2c_f32_f16_e32 v59, v122, v129
	v_dot2c_f32_f16_e32 v56, v122, v130
	v_dot2c_f32_f16_e32 v57, v122, v131
	v_dot2c_f32_f16_e32 v54, v123, v128
	v_dot2c_f32_f16_e32 v55, v123, v129
	v_dot2c_f32_f16_e32 v52, v123, v130
	v_dot2c_f32_f16_e32 v53, v123, v131
	;; [unrolled: 17-line block ×3, first 2 shown]
	v_dot2c_f32_f16_e32 v22, v132, v128
	v_dot2c_f32_f16_e32 v23, v132, v129
	;; [unrolled: 1-line block ×16, first 2 shown]
	ds_read_b128 v[120:123], v88 offset:9728
	ds_read_b128 v[124:127], v89 offset:26112
	;; [unrolled: 1-line block ×4, first 2 shown]
	v_cmp_gt_i32_e64 s[4:5], s61, v94
	s_and_b64 s[4:5], s[2:3], s[4:5]
	s_waitcnt lgkmcnt(2)
	v_dot2c_f32_f16_e32 v78, v120, v124
	v_dot2c_f32_f16_e32 v79, v120, v125
	v_dot2c_f32_f16_e32 v76, v120, v126
	v_dot2c_f32_f16_e32 v77, v120, v127
	v_dot2c_f32_f16_e32 v66, v121, v124
	v_dot2c_f32_f16_e32 v67, v121, v125
	v_dot2c_f32_f16_e32 v64, v121, v126
	v_dot2c_f32_f16_e32 v65, v121, v127
	v_dot2c_f32_f16_e32 v62, v122, v124
	v_dot2c_f32_f16_e32 v63, v122, v125
	v_dot2c_f32_f16_e32 v60, v122, v126
	v_dot2c_f32_f16_e32 v61, v122, v127
	v_dot2c_f32_f16_e32 v50, v123, v124
	v_dot2c_f32_f16_e32 v51, v123, v125
	v_dot2c_f32_f16_e32 v48, v123, v126
	v_dot2c_f32_f16_e32 v49, v123, v127
	s_waitcnt lgkmcnt(1)
	v_dot2c_f32_f16_e32 v74, v120, v128
	v_dot2c_f32_f16_e32 v75, v120, v129
	v_dot2c_f32_f16_e32 v72, v120, v130
	v_dot2c_f32_f16_e32 v73, v120, v131
	v_dot2c_f32_f16_e32 v70, v121, v128
	v_dot2c_f32_f16_e32 v71, v121, v129
	v_dot2c_f32_f16_e32 v68, v121, v130
	v_dot2c_f32_f16_e32 v69, v121, v131
	v_dot2c_f32_f16_e32 v58, v122, v128
	v_dot2c_f32_f16_e32 v59, v122, v129
	v_dot2c_f32_f16_e32 v56, v122, v130
	v_dot2c_f32_f16_e32 v57, v122, v131
	v_dot2c_f32_f16_e32 v54, v123, v128
	v_dot2c_f32_f16_e32 v55, v123, v129
	v_dot2c_f32_f16_e32 v52, v123, v130
	v_dot2c_f32_f16_e32 v53, v123, v131
	;; [unrolled: 17-line block ×3, first 2 shown]
	v_dot2c_f32_f16_e32 v22, v132, v128
	v_dot2c_f32_f16_e32 v23, v132, v129
	;; [unrolled: 1-line block ×16, first 2 shown]
	ds_read_b128 v[120:123], v88 offset:10240
	ds_read_b128 v[124:127], v89 offset:26624
	;; [unrolled: 1-line block ×4, first 2 shown]
	v_add_u32_e32 v115, v115, v117
	s_waitcnt vmcnt(2)
	v_cndmask_b32_e64 v11, 0, v11, s[4:5]
	s_waitcnt lgkmcnt(2)
	v_dot2c_f32_f16_e32 v78, v120, v124
	v_dot2c_f32_f16_e32 v79, v120, v125
	v_dot2c_f32_f16_e32 v76, v120, v126
	v_dot2c_f32_f16_e32 v77, v120, v127
	v_dot2c_f32_f16_e32 v66, v121, v124
	v_dot2c_f32_f16_e32 v67, v121, v125
	v_dot2c_f32_f16_e32 v64, v121, v126
	v_dot2c_f32_f16_e32 v65, v121, v127
	v_dot2c_f32_f16_e32 v62, v122, v124
	v_dot2c_f32_f16_e32 v63, v122, v125
	v_dot2c_f32_f16_e32 v60, v122, v126
	v_dot2c_f32_f16_e32 v61, v122, v127
	v_dot2c_f32_f16_e32 v50, v123, v124
	v_dot2c_f32_f16_e32 v51, v123, v125
	v_dot2c_f32_f16_e32 v48, v123, v126
	v_dot2c_f32_f16_e32 v49, v123, v127
	s_waitcnt lgkmcnt(1)
	v_dot2c_f32_f16_e32 v74, v120, v128
	v_dot2c_f32_f16_e32 v75, v120, v129
	v_dot2c_f32_f16_e32 v72, v120, v130
	v_dot2c_f32_f16_e32 v73, v120, v131
	v_dot2c_f32_f16_e32 v70, v121, v128
	v_dot2c_f32_f16_e32 v71, v121, v129
	v_dot2c_f32_f16_e32 v68, v121, v130
	v_dot2c_f32_f16_e32 v69, v121, v131
	v_dot2c_f32_f16_e32 v58, v122, v128
	v_dot2c_f32_f16_e32 v59, v122, v129
	v_dot2c_f32_f16_e32 v56, v122, v130
	v_dot2c_f32_f16_e32 v57, v122, v131
	v_dot2c_f32_f16_e32 v54, v123, v128
	v_dot2c_f32_f16_e32 v55, v123, v129
	v_dot2c_f32_f16_e32 v52, v123, v130
	v_dot2c_f32_f16_e32 v53, v123, v131
	;; [unrolled: 17-line block ×3, first 2 shown]
	v_dot2c_f32_f16_e32 v22, v132, v128
	v_dot2c_f32_f16_e32 v23, v132, v129
	;; [unrolled: 1-line block ×16, first 2 shown]
	ds_read_b128 v[120:123], v88 offset:10752
	ds_read_b128 v[124:127], v89 offset:27136
	;; [unrolled: 1-line block ×4, first 2 shown]
	v_cndmask_b32_e64 v10, 0, v10, s[4:5]
	v_cndmask_b32_e64 v9, 0, v9, s[4:5]
	s_waitcnt lgkmcnt(2)
	v_dot2c_f32_f16_e32 v78, v120, v124
	v_dot2c_f32_f16_e32 v79, v120, v125
	v_dot2c_f32_f16_e32 v76, v120, v126
	v_dot2c_f32_f16_e32 v77, v120, v127
	v_dot2c_f32_f16_e32 v66, v121, v124
	v_dot2c_f32_f16_e32 v67, v121, v125
	v_dot2c_f32_f16_e32 v64, v121, v126
	v_dot2c_f32_f16_e32 v65, v121, v127
	v_dot2c_f32_f16_e32 v62, v122, v124
	v_dot2c_f32_f16_e32 v63, v122, v125
	v_dot2c_f32_f16_e32 v60, v122, v126
	v_dot2c_f32_f16_e32 v61, v122, v127
	v_dot2c_f32_f16_e32 v50, v123, v124
	v_dot2c_f32_f16_e32 v51, v123, v125
	v_dot2c_f32_f16_e32 v48, v123, v126
	v_dot2c_f32_f16_e32 v49, v123, v127
	s_waitcnt lgkmcnt(1)
	v_dot2c_f32_f16_e32 v74, v120, v128
	v_dot2c_f32_f16_e32 v75, v120, v129
	v_dot2c_f32_f16_e32 v72, v120, v130
	v_dot2c_f32_f16_e32 v73, v120, v131
	v_dot2c_f32_f16_e32 v70, v121, v128
	v_dot2c_f32_f16_e32 v71, v121, v129
	v_dot2c_f32_f16_e32 v68, v121, v130
	v_dot2c_f32_f16_e32 v69, v121, v131
	v_dot2c_f32_f16_e32 v58, v122, v128
	v_dot2c_f32_f16_e32 v59, v122, v129
	v_dot2c_f32_f16_e32 v56, v122, v130
	v_dot2c_f32_f16_e32 v57, v122, v131
	v_dot2c_f32_f16_e32 v54, v123, v128
	v_dot2c_f32_f16_e32 v55, v123, v129
	v_dot2c_f32_f16_e32 v52, v123, v130
	v_dot2c_f32_f16_e32 v53, v123, v131
	s_waitcnt lgkmcnt(0)
	v_dot2c_f32_f16_e32 v18, v132, v124
	v_dot2c_f32_f16_e32 v19, v132, v125
	v_dot2c_f32_f16_e32 v16, v132, v126
	v_dot2c_f32_f16_e32 v17, v132, v127
	v_dot2c_f32_f16_e32 v30, v133, v124
	v_dot2c_f32_f16_e32 v31, v133, v125
	v_dot2c_f32_f16_e32 v28, v133, v126
	v_dot2c_f32_f16_e32 v29, v133, v127
	v_dot2c_f32_f16_e32 v34, v134, v124
	v_dot2c_f32_f16_e32 v35, v134, v125
	v_dot2c_f32_f16_e32 v32, v134, v126
	v_dot2c_f32_f16_e32 v33, v134, v127
	v_dot2c_f32_f16_e32 v40, v135, v124
	v_dot2c_f32_f16_e32 v41, v135, v125
	v_dot2c_f32_f16_e32 v46, v135, v126
	v_dot2c_f32_f16_e32 v47, v135, v127
	v_dot2c_f32_f16_e32 v22, v132, v128
	v_dot2c_f32_f16_e32 v23, v132, v129
	v_dot2c_f32_f16_e32 v20, v132, v130
	v_dot2c_f32_f16_e32 v21, v132, v131
	v_dot2c_f32_f16_e32 v26, v133, v128
	v_dot2c_f32_f16_e32 v27, v133, v129
	v_dot2c_f32_f16_e32 v24, v133, v130
	v_dot2c_f32_f16_e32 v25, v133, v131
	v_dot2c_f32_f16_e32 v38, v134, v128
	v_dot2c_f32_f16_e32 v39, v134, v129
	v_dot2c_f32_f16_e32 v36, v134, v130
	v_dot2c_f32_f16_e32 v37, v134, v131
	v_dot2c_f32_f16_e32 v44, v135, v128
	v_dot2c_f32_f16_e32 v45, v135, v129
	v_dot2c_f32_f16_e32 v42, v135, v130
	v_dot2c_f32_f16_e32 v43, v135, v131
	ds_read_b128 v[120:123], v88 offset:11264
	ds_read_b128 v[124:127], v89 offset:27648
	;; [unrolled: 1-line block ×4, first 2 shown]
	v_cndmask_b32_e64 v8, 0, v8, s[4:5]
	v_cmp_gt_i32_e64 s[4:5], s58, v84
	s_waitcnt lgkmcnt(2)
	v_dot2c_f32_f16_e32 v78, v120, v124
	v_dot2c_f32_f16_e32 v79, v120, v125
	v_dot2c_f32_f16_e32 v76, v120, v126
	v_dot2c_f32_f16_e32 v77, v120, v127
	v_dot2c_f32_f16_e32 v66, v121, v124
	v_dot2c_f32_f16_e32 v67, v121, v125
	v_dot2c_f32_f16_e32 v64, v121, v126
	v_dot2c_f32_f16_e32 v65, v121, v127
	v_dot2c_f32_f16_e32 v62, v122, v124
	v_dot2c_f32_f16_e32 v63, v122, v125
	v_dot2c_f32_f16_e32 v60, v122, v126
	v_dot2c_f32_f16_e32 v61, v122, v127
	v_dot2c_f32_f16_e32 v50, v123, v124
	v_dot2c_f32_f16_e32 v51, v123, v125
	v_dot2c_f32_f16_e32 v48, v123, v126
	v_dot2c_f32_f16_e32 v49, v123, v127
	s_waitcnt lgkmcnt(1)
	v_dot2c_f32_f16_e32 v74, v120, v128
	v_dot2c_f32_f16_e32 v75, v120, v129
	v_dot2c_f32_f16_e32 v72, v120, v130
	v_dot2c_f32_f16_e32 v73, v120, v131
	v_dot2c_f32_f16_e32 v70, v121, v128
	v_dot2c_f32_f16_e32 v71, v121, v129
	v_dot2c_f32_f16_e32 v68, v121, v130
	v_dot2c_f32_f16_e32 v69, v121, v131
	v_dot2c_f32_f16_e32 v58, v122, v128
	v_dot2c_f32_f16_e32 v59, v122, v129
	v_dot2c_f32_f16_e32 v56, v122, v130
	v_dot2c_f32_f16_e32 v57, v122, v131
	v_dot2c_f32_f16_e32 v54, v123, v128
	v_dot2c_f32_f16_e32 v55, v123, v129
	v_dot2c_f32_f16_e32 v52, v123, v130
	v_dot2c_f32_f16_e32 v53, v123, v131
	;; [unrolled: 17-line block ×3, first 2 shown]
	v_dot2c_f32_f16_e32 v22, v132, v128
	v_dot2c_f32_f16_e32 v23, v132, v129
	;; [unrolled: 1-line block ×16, first 2 shown]
	ds_read_b128 v[120:123], v88 offset:11776
	ds_read_b128 v[124:127], v89 offset:28160
	;; [unrolled: 1-line block ×4, first 2 shown]
	v_add_u32_e32 v84, v116, v118
	v_cmp_le_i32_e64 s[6:7], s16, v115
	s_waitcnt lgkmcnt(2)
	v_dot2c_f32_f16_e32 v78, v120, v124
	v_dot2c_f32_f16_e32 v79, v120, v125
	v_dot2c_f32_f16_e32 v76, v120, v126
	v_dot2c_f32_f16_e32 v77, v120, v127
	v_dot2c_f32_f16_e32 v66, v121, v124
	v_dot2c_f32_f16_e32 v67, v121, v125
	v_dot2c_f32_f16_e32 v64, v121, v126
	v_dot2c_f32_f16_e32 v65, v121, v127
	v_dot2c_f32_f16_e32 v62, v122, v124
	v_dot2c_f32_f16_e32 v63, v122, v125
	v_dot2c_f32_f16_e32 v60, v122, v126
	v_dot2c_f32_f16_e32 v61, v122, v127
	v_dot2c_f32_f16_e32 v50, v123, v124
	v_dot2c_f32_f16_e32 v51, v123, v125
	v_dot2c_f32_f16_e32 v48, v123, v126
	v_dot2c_f32_f16_e32 v49, v123, v127
	s_waitcnt lgkmcnt(1)
	v_dot2c_f32_f16_e32 v74, v120, v128
	v_dot2c_f32_f16_e32 v75, v120, v129
	v_dot2c_f32_f16_e32 v72, v120, v130
	v_dot2c_f32_f16_e32 v73, v120, v131
	v_dot2c_f32_f16_e32 v70, v121, v128
	v_dot2c_f32_f16_e32 v71, v121, v129
	v_dot2c_f32_f16_e32 v68, v121, v130
	v_dot2c_f32_f16_e32 v69, v121, v131
	v_dot2c_f32_f16_e32 v58, v122, v128
	v_dot2c_f32_f16_e32 v59, v122, v129
	v_dot2c_f32_f16_e32 v56, v122, v130
	v_dot2c_f32_f16_e32 v57, v122, v131
	v_dot2c_f32_f16_e32 v54, v123, v128
	v_dot2c_f32_f16_e32 v55, v123, v129
	v_dot2c_f32_f16_e32 v52, v123, v130
	v_dot2c_f32_f16_e32 v53, v123, v131
	;; [unrolled: 17-line block ×3, first 2 shown]
	v_dot2c_f32_f16_e32 v22, v132, v128
	v_dot2c_f32_f16_e32 v23, v132, v129
	;; [unrolled: 1-line block ×16, first 2 shown]
	ds_read_b128 v[120:123], v88 offset:12288
	ds_read_b128 v[124:127], v89 offset:28672
	;; [unrolled: 1-line block ×4, first 2 shown]
	v_cmp_gt_i32_e64 s[8:9], s17, v115
	s_and_b64 s[10:11], s[6:7], s[8:9]
	s_waitcnt lgkmcnt(2)
	v_dot2c_f32_f16_e32 v78, v120, v124
	v_dot2c_f32_f16_e32 v79, v120, v125
	v_dot2c_f32_f16_e32 v76, v120, v126
	v_dot2c_f32_f16_e32 v77, v120, v127
	v_dot2c_f32_f16_e32 v66, v121, v124
	v_dot2c_f32_f16_e32 v67, v121, v125
	v_dot2c_f32_f16_e32 v64, v121, v126
	v_dot2c_f32_f16_e32 v65, v121, v127
	v_dot2c_f32_f16_e32 v62, v122, v124
	v_dot2c_f32_f16_e32 v63, v122, v125
	v_dot2c_f32_f16_e32 v60, v122, v126
	v_dot2c_f32_f16_e32 v61, v122, v127
	v_dot2c_f32_f16_e32 v50, v123, v124
	v_dot2c_f32_f16_e32 v51, v123, v125
	v_dot2c_f32_f16_e32 v48, v123, v126
	v_dot2c_f32_f16_e32 v49, v123, v127
	s_waitcnt lgkmcnt(1)
	v_dot2c_f32_f16_e32 v74, v120, v128
	v_dot2c_f32_f16_e32 v75, v120, v129
	v_dot2c_f32_f16_e32 v72, v120, v130
	v_dot2c_f32_f16_e32 v73, v120, v131
	v_dot2c_f32_f16_e32 v70, v121, v128
	v_dot2c_f32_f16_e32 v71, v121, v129
	v_dot2c_f32_f16_e32 v68, v121, v130
	v_dot2c_f32_f16_e32 v69, v121, v131
	v_dot2c_f32_f16_e32 v58, v122, v128
	v_dot2c_f32_f16_e32 v59, v122, v129
	v_dot2c_f32_f16_e32 v56, v122, v130
	v_dot2c_f32_f16_e32 v57, v122, v131
	v_dot2c_f32_f16_e32 v54, v123, v128
	v_dot2c_f32_f16_e32 v55, v123, v129
	v_dot2c_f32_f16_e32 v52, v123, v130
	v_dot2c_f32_f16_e32 v53, v123, v131
	;; [unrolled: 17-line block ×3, first 2 shown]
	v_dot2c_f32_f16_e32 v22, v132, v128
	v_dot2c_f32_f16_e32 v23, v132, v129
	;; [unrolled: 1-line block ×16, first 2 shown]
	ds_read_b128 v[120:123], v88 offset:12800
	ds_read_b128 v[124:127], v89 offset:29184
	ds_read_b128 v[128:131], v89 offset:29440
	ds_read_b128 v[132:135], v88 offset:13056
	v_cmp_gt_i32_e64 s[8:9], s21, v84
	v_cmp_le_i32_e64 s[6:7], s52, v84
	s_waitcnt lgkmcnt(2)
	v_dot2c_f32_f16_e32 v78, v120, v124
	v_dot2c_f32_f16_e32 v79, v120, v125
	v_dot2c_f32_f16_e32 v76, v120, v126
	v_dot2c_f32_f16_e32 v77, v120, v127
	v_dot2c_f32_f16_e32 v66, v121, v124
	v_dot2c_f32_f16_e32 v67, v121, v125
	v_dot2c_f32_f16_e32 v64, v121, v126
	v_dot2c_f32_f16_e32 v65, v121, v127
	v_dot2c_f32_f16_e32 v62, v122, v124
	v_dot2c_f32_f16_e32 v63, v122, v125
	v_dot2c_f32_f16_e32 v60, v122, v126
	v_dot2c_f32_f16_e32 v61, v122, v127
	v_dot2c_f32_f16_e32 v50, v123, v124
	v_dot2c_f32_f16_e32 v51, v123, v125
	v_dot2c_f32_f16_e32 v48, v123, v126
	v_dot2c_f32_f16_e32 v49, v123, v127
	s_waitcnt lgkmcnt(1)
	v_dot2c_f32_f16_e32 v74, v120, v128
	v_dot2c_f32_f16_e32 v75, v120, v129
	v_dot2c_f32_f16_e32 v72, v120, v130
	v_dot2c_f32_f16_e32 v73, v120, v131
	v_dot2c_f32_f16_e32 v70, v121, v128
	v_dot2c_f32_f16_e32 v71, v121, v129
	v_dot2c_f32_f16_e32 v68, v121, v130
	v_dot2c_f32_f16_e32 v69, v121, v131
	v_dot2c_f32_f16_e32 v58, v122, v128
	v_dot2c_f32_f16_e32 v59, v122, v129
	v_dot2c_f32_f16_e32 v56, v122, v130
	v_dot2c_f32_f16_e32 v57, v122, v131
	v_dot2c_f32_f16_e32 v54, v123, v128
	v_dot2c_f32_f16_e32 v55, v123, v129
	v_dot2c_f32_f16_e32 v52, v123, v130
	v_dot2c_f32_f16_e32 v53, v123, v131
	;; [unrolled: 17-line block ×3, first 2 shown]
	v_dot2c_f32_f16_e32 v22, v132, v128
	v_dot2c_f32_f16_e32 v23, v132, v129
	;; [unrolled: 1-line block ×16, first 2 shown]
	ds_read_b128 v[120:123], v88 offset:13312
	ds_read_b128 v[124:127], v89 offset:29696
	;; [unrolled: 1-line block ×4, first 2 shown]
	s_and_b64 s[4:5], s[8:9], s[4:5]
	s_and_b64 s[4:5], s[4:5], s[6:7]
	s_waitcnt lgkmcnt(2)
	v_dot2c_f32_f16_e32 v78, v120, v124
	v_dot2c_f32_f16_e32 v79, v120, v125
	v_dot2c_f32_f16_e32 v76, v120, v126
	v_dot2c_f32_f16_e32 v77, v120, v127
	v_dot2c_f32_f16_e32 v66, v121, v124
	v_dot2c_f32_f16_e32 v67, v121, v125
	v_dot2c_f32_f16_e32 v64, v121, v126
	v_dot2c_f32_f16_e32 v65, v121, v127
	v_dot2c_f32_f16_e32 v62, v122, v124
	v_dot2c_f32_f16_e32 v63, v122, v125
	v_dot2c_f32_f16_e32 v60, v122, v126
	v_dot2c_f32_f16_e32 v61, v122, v127
	v_dot2c_f32_f16_e32 v50, v123, v124
	v_dot2c_f32_f16_e32 v51, v123, v125
	v_dot2c_f32_f16_e32 v48, v123, v126
	v_dot2c_f32_f16_e32 v49, v123, v127
	s_waitcnt lgkmcnt(1)
	v_dot2c_f32_f16_e32 v74, v120, v128
	v_dot2c_f32_f16_e32 v75, v120, v129
	v_dot2c_f32_f16_e32 v72, v120, v130
	v_dot2c_f32_f16_e32 v73, v120, v131
	v_dot2c_f32_f16_e32 v70, v121, v128
	v_dot2c_f32_f16_e32 v71, v121, v129
	v_dot2c_f32_f16_e32 v68, v121, v130
	v_dot2c_f32_f16_e32 v69, v121, v131
	v_dot2c_f32_f16_e32 v58, v122, v128
	v_dot2c_f32_f16_e32 v59, v122, v129
	v_dot2c_f32_f16_e32 v56, v122, v130
	v_dot2c_f32_f16_e32 v57, v122, v131
	v_dot2c_f32_f16_e32 v54, v123, v128
	v_dot2c_f32_f16_e32 v55, v123, v129
	v_dot2c_f32_f16_e32 v52, v123, v130
	v_dot2c_f32_f16_e32 v53, v123, v131
	;; [unrolled: 17-line block ×3, first 2 shown]
	v_dot2c_f32_f16_e32 v22, v132, v128
	v_dot2c_f32_f16_e32 v23, v132, v129
	;; [unrolled: 1-line block ×16, first 2 shown]
	ds_read_b128 v[120:123], v88 offset:13824
	ds_read_b128 v[124:127], v89 offset:30208
	;; [unrolled: 1-line block ×4, first 2 shown]
	s_and_b64 s[4:5], s[10:11], s[4:5]
	s_and_b64 s[4:5], vcc, s[4:5]
	s_waitcnt lgkmcnt(2)
	v_dot2c_f32_f16_e32 v78, v120, v124
	v_dot2c_f32_f16_e32 v79, v120, v125
	v_dot2c_f32_f16_e32 v76, v120, v126
	v_dot2c_f32_f16_e32 v77, v120, v127
	v_dot2c_f32_f16_e32 v66, v121, v124
	v_dot2c_f32_f16_e32 v67, v121, v125
	v_dot2c_f32_f16_e32 v64, v121, v126
	v_dot2c_f32_f16_e32 v65, v121, v127
	v_dot2c_f32_f16_e32 v62, v122, v124
	v_dot2c_f32_f16_e32 v63, v122, v125
	v_dot2c_f32_f16_e32 v60, v122, v126
	v_dot2c_f32_f16_e32 v61, v122, v127
	v_dot2c_f32_f16_e32 v50, v123, v124
	v_dot2c_f32_f16_e32 v51, v123, v125
	v_dot2c_f32_f16_e32 v48, v123, v126
	v_dot2c_f32_f16_e32 v49, v123, v127
	s_waitcnt lgkmcnt(1)
	v_dot2c_f32_f16_e32 v74, v120, v128
	v_dot2c_f32_f16_e32 v75, v120, v129
	v_dot2c_f32_f16_e32 v72, v120, v130
	v_dot2c_f32_f16_e32 v73, v120, v131
	v_dot2c_f32_f16_e32 v70, v121, v128
	v_dot2c_f32_f16_e32 v71, v121, v129
	v_dot2c_f32_f16_e32 v68, v121, v130
	v_dot2c_f32_f16_e32 v69, v121, v131
	v_dot2c_f32_f16_e32 v58, v122, v128
	v_dot2c_f32_f16_e32 v59, v122, v129
	v_dot2c_f32_f16_e32 v56, v122, v130
	v_dot2c_f32_f16_e32 v57, v122, v131
	v_dot2c_f32_f16_e32 v54, v123, v128
	v_dot2c_f32_f16_e32 v55, v123, v129
	v_dot2c_f32_f16_e32 v52, v123, v130
	v_dot2c_f32_f16_e32 v53, v123, v131
	;; [unrolled: 17-line block ×3, first 2 shown]
	v_dot2c_f32_f16_e32 v22, v132, v128
	v_dot2c_f32_f16_e32 v23, v132, v129
	;; [unrolled: 1-line block ×16, first 2 shown]
	ds_read_b128 v[120:123], v88 offset:14336
	ds_read_b128 v[124:127], v89 offset:30720
	;; [unrolled: 1-line block ×4, first 2 shown]
	v_add_u32_e32 v82, v82, v115
	s_waitcnt vmcnt(1)
	v_cndmask_b32_e64 v7, 0, v7, s[4:5]
	s_waitcnt lgkmcnt(2)
	v_dot2c_f32_f16_e32 v78, v120, v124
	v_dot2c_f32_f16_e32 v79, v120, v125
	v_dot2c_f32_f16_e32 v76, v120, v126
	v_dot2c_f32_f16_e32 v77, v120, v127
	v_dot2c_f32_f16_e32 v66, v121, v124
	v_dot2c_f32_f16_e32 v67, v121, v125
	v_dot2c_f32_f16_e32 v64, v121, v126
	v_dot2c_f32_f16_e32 v65, v121, v127
	v_dot2c_f32_f16_e32 v62, v122, v124
	v_dot2c_f32_f16_e32 v63, v122, v125
	v_dot2c_f32_f16_e32 v60, v122, v126
	v_dot2c_f32_f16_e32 v61, v122, v127
	v_dot2c_f32_f16_e32 v50, v123, v124
	v_dot2c_f32_f16_e32 v51, v123, v125
	v_dot2c_f32_f16_e32 v48, v123, v126
	v_dot2c_f32_f16_e32 v49, v123, v127
	s_waitcnt lgkmcnt(1)
	v_dot2c_f32_f16_e32 v74, v120, v128
	v_dot2c_f32_f16_e32 v75, v120, v129
	v_dot2c_f32_f16_e32 v72, v120, v130
	v_dot2c_f32_f16_e32 v73, v120, v131
	v_dot2c_f32_f16_e32 v70, v121, v128
	v_dot2c_f32_f16_e32 v71, v121, v129
	v_dot2c_f32_f16_e32 v68, v121, v130
	v_dot2c_f32_f16_e32 v69, v121, v131
	v_dot2c_f32_f16_e32 v58, v122, v128
	v_dot2c_f32_f16_e32 v59, v122, v129
	v_dot2c_f32_f16_e32 v56, v122, v130
	v_dot2c_f32_f16_e32 v57, v122, v131
	v_dot2c_f32_f16_e32 v54, v123, v128
	v_dot2c_f32_f16_e32 v55, v123, v129
	v_dot2c_f32_f16_e32 v52, v123, v130
	v_dot2c_f32_f16_e32 v53, v123, v131
	;; [unrolled: 17-line block ×3, first 2 shown]
	v_dot2c_f32_f16_e32 v22, v132, v128
	v_dot2c_f32_f16_e32 v23, v132, v129
	;; [unrolled: 1-line block ×16, first 2 shown]
	ds_read_b128 v[120:123], v88 offset:14848
	ds_read_b128 v[124:127], v89 offset:31232
	;; [unrolled: 1-line block ×4, first 2 shown]
	v_cndmask_b32_e64 v6, 0, v6, s[4:5]
	v_cndmask_b32_e64 v5, 0, v5, s[4:5]
	s_waitcnt lgkmcnt(2)
	v_dot2c_f32_f16_e32 v78, v120, v124
	v_dot2c_f32_f16_e32 v79, v120, v125
	v_dot2c_f32_f16_e32 v76, v120, v126
	v_dot2c_f32_f16_e32 v77, v120, v127
	v_dot2c_f32_f16_e32 v66, v121, v124
	v_dot2c_f32_f16_e32 v67, v121, v125
	v_dot2c_f32_f16_e32 v64, v121, v126
	v_dot2c_f32_f16_e32 v65, v121, v127
	v_dot2c_f32_f16_e32 v62, v122, v124
	v_dot2c_f32_f16_e32 v63, v122, v125
	v_dot2c_f32_f16_e32 v60, v122, v126
	v_dot2c_f32_f16_e32 v61, v122, v127
	v_dot2c_f32_f16_e32 v50, v123, v124
	v_dot2c_f32_f16_e32 v51, v123, v125
	v_dot2c_f32_f16_e32 v48, v123, v126
	v_dot2c_f32_f16_e32 v49, v123, v127
	s_waitcnt lgkmcnt(1)
	v_dot2c_f32_f16_e32 v74, v120, v128
	v_dot2c_f32_f16_e32 v75, v120, v129
	v_dot2c_f32_f16_e32 v72, v120, v130
	v_dot2c_f32_f16_e32 v73, v120, v131
	v_dot2c_f32_f16_e32 v70, v121, v128
	v_dot2c_f32_f16_e32 v71, v121, v129
	v_dot2c_f32_f16_e32 v68, v121, v130
	v_dot2c_f32_f16_e32 v69, v121, v131
	v_dot2c_f32_f16_e32 v58, v122, v128
	v_dot2c_f32_f16_e32 v59, v122, v129
	v_dot2c_f32_f16_e32 v56, v122, v130
	v_dot2c_f32_f16_e32 v57, v122, v131
	v_dot2c_f32_f16_e32 v54, v123, v128
	v_dot2c_f32_f16_e32 v55, v123, v129
	v_dot2c_f32_f16_e32 v52, v123, v130
	v_dot2c_f32_f16_e32 v53, v123, v131
	;; [unrolled: 17-line block ×3, first 2 shown]
	v_dot2c_f32_f16_e32 v22, v132, v128
	v_dot2c_f32_f16_e32 v23, v132, v129
	;; [unrolled: 1-line block ×16, first 2 shown]
	ds_read_b128 v[120:123], v88 offset:15360
	ds_read_b128 v[124:127], v89 offset:31744
	;; [unrolled: 1-line block ×4, first 2 shown]
	v_cndmask_b32_e64 v4, 0, v4, s[4:5]
	v_cmp_gt_i32_e64 s[4:5], s58, v81
	v_cmp_le_i32_e64 s[6:7], s16, v82
	v_cmp_gt_i32_e64 s[8:9], s17, v82
	v_add_u32_e32 v81, v114, v84
	s_and_b64 s[10:11], s[6:7], s[8:9]
	v_cmp_gt_i32_e64 s[8:9], s21, v81
	v_cmp_le_i32_e64 s[6:7], s52, v81
	s_and_b64 s[4:5], s[8:9], s[4:5]
	s_and_b64 s[4:5], s[4:5], s[6:7]
	s_waitcnt lgkmcnt(2)
	v_dot2c_f32_f16_e32 v78, v120, v124
	v_dot2c_f32_f16_e32 v79, v120, v125
	v_dot2c_f32_f16_e32 v76, v120, v126
	v_dot2c_f32_f16_e32 v77, v120, v127
	v_dot2c_f32_f16_e32 v66, v121, v124
	v_dot2c_f32_f16_e32 v67, v121, v125
	v_dot2c_f32_f16_e32 v64, v121, v126
	v_dot2c_f32_f16_e32 v65, v121, v127
	v_dot2c_f32_f16_e32 v62, v122, v124
	v_dot2c_f32_f16_e32 v63, v122, v125
	v_dot2c_f32_f16_e32 v60, v122, v126
	v_dot2c_f32_f16_e32 v61, v122, v127
	v_dot2c_f32_f16_e32 v50, v123, v124
	v_dot2c_f32_f16_e32 v51, v123, v125
	v_dot2c_f32_f16_e32 v48, v123, v126
	v_dot2c_f32_f16_e32 v49, v123, v127
	s_waitcnt lgkmcnt(1)
	v_dot2c_f32_f16_e32 v74, v120, v128
	v_dot2c_f32_f16_e32 v75, v120, v129
	v_dot2c_f32_f16_e32 v72, v120, v130
	v_dot2c_f32_f16_e32 v73, v120, v131
	v_dot2c_f32_f16_e32 v70, v121, v128
	v_dot2c_f32_f16_e32 v71, v121, v129
	v_dot2c_f32_f16_e32 v68, v121, v130
	v_dot2c_f32_f16_e32 v69, v121, v131
	v_dot2c_f32_f16_e32 v58, v122, v128
	v_dot2c_f32_f16_e32 v59, v122, v129
	v_dot2c_f32_f16_e32 v56, v122, v130
	v_dot2c_f32_f16_e32 v57, v122, v131
	v_dot2c_f32_f16_e32 v54, v123, v128
	v_dot2c_f32_f16_e32 v55, v123, v129
	v_dot2c_f32_f16_e32 v52, v123, v130
	v_dot2c_f32_f16_e32 v53, v123, v131
	;; [unrolled: 17-line block ×3, first 2 shown]
	v_dot2c_f32_f16_e32 v22, v132, v128
	v_dot2c_f32_f16_e32 v23, v132, v129
	;; [unrolled: 1-line block ×16, first 2 shown]
	ds_read_b128 v[120:123], v88 offset:15872
	ds_read_b128 v[124:127], v89 offset:32256
	;; [unrolled: 1-line block ×4, first 2 shown]
	s_and_b64 s[4:5], s[10:11], s[4:5]
	s_and_b64 s[4:5], vcc, s[4:5]
	s_waitcnt vmcnt(0)
	v_cndmask_b32_e64 v3, 0, v3, s[4:5]
	v_cndmask_b32_e64 v2, 0, v2, s[4:5]
	;; [unrolled: 1-line block ×4, first 2 shown]
	s_add_i32 s4, s63, s53
	s_add_i32 s5, s62, s22
	;; [unrolled: 1-line block ×3, first 2 shown]
	ds_write2st64_b32 v90, v12, v13 offset0:64 offset1:66
	ds_write2st64_b32 v90, v14, v15 offset0:68 offset1:70
	;; [unrolled: 1-line block ×4, first 2 shown]
	ds_write2st64_b32 v90, v4, v5 offset1:2
	ds_write2st64_b32 v90, v6, v7 offset0:4 offset1:6
	ds_write2st64_b32 v90, v0, v1 offset0:8 offset1:10
	;; [unrolled: 1-line block ×3, first 2 shown]
	s_add_i32 s5, s5, s5
	v_add_u32_e32 v111, s4, v111
	v_mul_lo_u32 v0, v113, s45
	s_waitcnt lgkmcnt(10)
	v_dot2c_f32_f16_e32 v78, v120, v124
	v_dot2c_f32_f16_e32 v79, v120, v125
	v_dot2c_f32_f16_e32 v76, v120, v126
	v_dot2c_f32_f16_e32 v77, v120, v127
	v_dot2c_f32_f16_e32 v66, v121, v124
	v_dot2c_f32_f16_e32 v67, v121, v125
	v_dot2c_f32_f16_e32 v64, v121, v126
	v_dot2c_f32_f16_e32 v65, v121, v127
	v_dot2c_f32_f16_e32 v62, v122, v124
	v_dot2c_f32_f16_e32 v63, v122, v125
	v_dot2c_f32_f16_e32 v60, v122, v126
	v_dot2c_f32_f16_e32 v61, v122, v127
	v_dot2c_f32_f16_e32 v50, v123, v124
	v_dot2c_f32_f16_e32 v51, v123, v125
	v_dot2c_f32_f16_e32 v48, v123, v126
	v_dot2c_f32_f16_e32 v49, v123, v127
	s_waitcnt lgkmcnt(9)
	v_dot2c_f32_f16_e32 v74, v120, v128
	v_dot2c_f32_f16_e32 v75, v120, v129
	v_dot2c_f32_f16_e32 v72, v120, v130
	v_dot2c_f32_f16_e32 v73, v120, v131
	v_dot2c_f32_f16_e32 v70, v121, v128
	v_dot2c_f32_f16_e32 v71, v121, v129
	v_dot2c_f32_f16_e32 v68, v121, v130
	v_dot2c_f32_f16_e32 v69, v121, v131
	v_dot2c_f32_f16_e32 v58, v122, v128
	v_dot2c_f32_f16_e32 v59, v122, v129
	v_dot2c_f32_f16_e32 v56, v122, v130
	v_dot2c_f32_f16_e32 v57, v122, v131
	v_dot2c_f32_f16_e32 v54, v123, v128
	v_dot2c_f32_f16_e32 v55, v123, v129
	v_dot2c_f32_f16_e32 v52, v123, v130
	v_dot2c_f32_f16_e32 v53, v123, v131
	;; [unrolled: 17-line block ×3, first 2 shown]
	v_dot2c_f32_f16_e32 v22, v132, v128
	v_dot2c_f32_f16_e32 v23, v132, v129
	;; [unrolled: 1-line block ×16, first 2 shown]
	v_add_u32_e32 v94, s24, v94
	v_add_u32_e32 v95, s24, v95
	;; [unrolled: 1-line block ×7, first 2 shown]
	s_cmp_lt_i32 s70, s20
	v_sub_u32_e32 v1, v111, v0
	s_cbranch_scc1 .LBB5_1
; %bb.2:
	s_mul_i32 s4, s14, s60
	s_mul_hi_u32 s5, s14, s59
	s_add_i32 s4, s5, s4
	s_mul_i32 s5, s15, s59
	s_add_i32 s5, s4, s5
	s_mul_i32 s4, s14, s59
	s_lshl_b64 s[4:5], s[4:5], 1
	s_load_dwordx2 s[0:1], s[0:1], 0x10
	s_add_u32 s20, s50, s4
	s_addc_u32 s14, s51, s5
	s_mul_i32 s4, s12, s60
	s_mul_hi_u32 s5, s12, s59
	s_add_i32 s4, s5, s4
	s_mul_i32 s5, s13, s59
	s_add_i32 s5, s4, s5
	s_mul_i32 s4, s12, s59
	s_lshl_b64 s[4:5], s[4:5], 1
	s_waitcnt lgkmcnt(0)
	s_add_u32 s24, s0, s4
	s_addc_u32 s15, s1, s5
	s_add_i32 s53, s53, s66
	v_add_u32_e32 v84, s53, v92
	v_mul_hi_u32 v0, v84, s47
	v_add_u32_e32 v0, v84, v0
	v_lshrrev_b32_e32 v3, s49, v0
	v_mul_hi_u32 v2, v3, s46
	v_add_u32_e32 v4, v3, v2
	v_lshrrev_b32_e32 v9, s48, v4
	v_mul_lo_u32 v0, v3, s45
	v_mul_lo_u32 v4, v9, s44
	v_add3_u32 v1, v92, v112, s66
	v_sub_u32_e32 v0, v84, v0
	v_sub_u32_e32 v8, v3, v4
	;; [unrolled: 1-line block ×5, first 2 shown]
	v_mul_lo_u32 v2, v1, s27
	v_mul_lo_u32 v86, v4, s43
	;; [unrolled: 1-line block ×3, first 2 shown]
	v_add_u32_e32 v96, s63, v84
	v_mul_lo_u32 v4, v86, s65
	v_mad_u64_u32 v[2:3], s[0:1], v87, s64, v[2:3]
	v_mul_hi_u32 v1, v96, s47
	v_add3_u32 v2, v2, v4, v80
	v_add_u32_e32 v1, v96, v1
	v_lshlrev_b32_e32 v3, 1, v2
	s_waitcnt lgkmcnt(0)
	s_barrier
	buffer_load_dwordx4 v[4:7], v3, s[36:39], 0 offen
	v_lshrrev_b32_e32 v3, s49, v1
	v_mad_u64_u32 v[0:1], s[0:1], v3, s45, v[0:1]
	v_sub_u32_e32 v10, v96, v0
	v_mul_hi_u32 v0, v3, s46
	v_add_u32_e32 v0, v3, v0
	v_lshrrev_b32_e32 v11, s48, v0
	v_mad_u64_u32 v[0:1], s[0:1], v11, s44, v[8:9]
	v_sub_u32_e32 v1, v11, v9
	v_sub_u32_e32 v0, v3, v0
	v_mul_lo_u32 v0, v0, s43
	v_mul_lo_u32 v1, v1, s23
	;; [unrolled: 1-line block ×5, first 2 shown]
	v_add3_u32 v3, v3, v9, v8
	v_add_lshl_u32 v2, v3, v2, 1
	v_add_u32_e32 v80, s22, v93
	buffer_load_dwordx4 v[8:11], v2, s[36:39], 0 offen
	v_add_u32_e32 v2, v80, v91
	v_lshlrev_b32_e32 v3, 1, v2
	buffer_load_dwordx4 v[12:15], v3, s[28:31], 0 offen
	v_add_lshl_u32 v2, v2, s62, 1
	buffer_load_dwordx4 v[92:95], v2, s[28:31], 0 offen
	v_add_u32_e32 v2, v87, v82
	v_cmp_le_i32_e64 s[6:7], s16, v2
	v_cmp_gt_i32_e64 s[8:9], s17, v2
	v_add_u32_e32 v1, v1, v2
	v_add_u32_e32 v2, v86, v81
	s_and_b64 s[22:23], s[6:7], s[8:9]
	v_cmp_gt_i32_e64 s[6:7], s17, v1
	v_cmp_le_i32_e64 s[8:9], s16, v1
	v_add_u32_e32 v0, v0, v2
	v_cmp_gt_i32_e64 s[0:1], s58, v84
	v_cmp_gt_i32_e64 s[4:5], s58, v96
	;; [unrolled: 1-line block ×3, first 2 shown]
	s_and_b64 s[8:9], s[8:9], s[6:7]
	v_cmp_gt_i32_e64 s[6:7], s21, v0
	v_cmp_le_i32_e64 s[10:11], s52, v2
	s_and_b64 s[12:13], s[12:13], s[0:1]
	v_cmp_le_i32_e64 s[0:1], s52, v0
	s_and_b64 s[4:5], s[6:7], s[4:5]
	s_and_b64 s[10:11], s[12:13], s[10:11]
	;; [unrolled: 1-line block ×5, first 2 shown]
	s_and_b64 s[0:1], vcc, s[6:7]
	s_and_b64 vcc, vcc, s[4:5]
	s_lshl_b32 s26, s42, 1
	s_and_b32 s25, s15, 0xffff
	s_mov_b32 s27, 0x20000
	s_lshl_b32 s22, s34, 1
	s_and_b32 s21, s14, 0xffff
	s_mov_b32 s23, s27
	s_waitcnt vmcnt(3)
	v_cndmask_b32_e64 v0, 0, v7, s[0:1]
	v_cndmask_b32_e64 v1, 0, v6, s[0:1]
	;; [unrolled: 1-line block ×4, first 2 shown]
	s_waitcnt vmcnt(2)
	v_cndmask_b32_e32 v3, 0, v11, vcc
	v_cndmask_b32_e32 v5, 0, v10, vcc
	;; [unrolled: 1-line block ×4, first 2 shown]
	v_cmp_gt_i32_e32 vcc, s61, v80
	s_and_b64 vcc, s[2:3], vcc
	s_waitcnt vmcnt(1)
	v_cndmask_b32_e32 v11, 0, v12, vcc
	v_add_u32_e32 v12, s62, v80
	v_cndmask_b32_e32 v8, 0, v15, vcc
	v_cndmask_b32_e32 v9, 0, v14, vcc
	;; [unrolled: 1-line block ×3, first 2 shown]
	v_cmp_gt_i32_e32 vcc, s61, v12
	s_and_b64 vcc, s[2:3], vcc
	s_lshl_b32 s2, s41, 6
	s_waitcnt vmcnt(0)
	v_cndmask_b32_e32 v12, 0, v95, vcc
	v_cndmask_b32_e32 v13, 0, v94, vcc
	ds_read_b128 v[94:97], v88
	ds_read_b128 v[98:101], v89 offset:16384
	ds_read_b128 v[102:105], v89 offset:16640
	;; [unrolled: 1-line block ×3, first 2 shown]
	v_cndmask_b32_e32 v14, 0, v93, vcc
	v_cndmask_b32_e32 v15, 0, v92, vcc
	s_waitcnt lgkmcnt(2)
	v_dot2c_f32_f16_e32 v78, v94, v98
	v_dot2c_f32_f16_e32 v79, v94, v99
	v_dot2c_f32_f16_e32 v76, v94, v100
	v_dot2c_f32_f16_e32 v77, v94, v101
	v_dot2c_f32_f16_e32 v66, v95, v98
	v_dot2c_f32_f16_e32 v67, v95, v99
	v_dot2c_f32_f16_e32 v64, v95, v100
	v_dot2c_f32_f16_e32 v65, v95, v101
	v_dot2c_f32_f16_e32 v62, v96, v98
	v_dot2c_f32_f16_e32 v63, v96, v99
	v_dot2c_f32_f16_e32 v60, v96, v100
	v_dot2c_f32_f16_e32 v61, v96, v101
	v_dot2c_f32_f16_e32 v50, v97, v98
	v_dot2c_f32_f16_e32 v51, v97, v99
	v_dot2c_f32_f16_e32 v48, v97, v100
	v_dot2c_f32_f16_e32 v49, v97, v101
	s_waitcnt lgkmcnt(1)
	v_dot2c_f32_f16_e32 v74, v94, v102
	v_dot2c_f32_f16_e32 v75, v94, v103
	;; [unrolled: 1-line block ×16, first 2 shown]
	ds_read_b128 v[92:95], v88 offset:512
	s_waitcnt lgkmcnt(1)
	v_dot2c_f32_f16_e32 v18, v106, v98
	v_dot2c_f32_f16_e32 v19, v106, v99
	;; [unrolled: 1-line block ×16, first 2 shown]
	ds_read_b128 v[96:99], v89 offset:16896
	v_dot2c_f32_f16_e32 v22, v106, v102
	v_dot2c_f32_f16_e32 v23, v106, v103
	;; [unrolled: 1-line block ×16, first 2 shown]
	ds_read_b128 v[100:103], v89 offset:17152
	ds_read_b128 v[104:107], v88 offset:768
	s_waitcnt lgkmcnt(2)
	v_dot2c_f32_f16_e32 v78, v92, v96
	v_dot2c_f32_f16_e32 v79, v92, v97
	;; [unrolled: 1-line block ×16, first 2 shown]
	s_waitcnt lgkmcnt(1)
	v_dot2c_f32_f16_e32 v74, v92, v100
	v_dot2c_f32_f16_e32 v75, v92, v101
	;; [unrolled: 1-line block ×16, first 2 shown]
	ds_read_b128 v[92:95], v88 offset:1024
	s_waitcnt lgkmcnt(1)
	v_dot2c_f32_f16_e32 v18, v104, v96
	v_dot2c_f32_f16_e32 v19, v104, v97
	;; [unrolled: 1-line block ×16, first 2 shown]
	ds_read_b128 v[96:99], v89 offset:17408
	v_dot2c_f32_f16_e32 v22, v104, v100
	v_dot2c_f32_f16_e32 v23, v104, v101
	;; [unrolled: 1-line block ×16, first 2 shown]
	ds_read_b128 v[100:103], v89 offset:17664
	ds_read_b128 v[104:107], v88 offset:1280
	s_waitcnt lgkmcnt(2)
	v_dot2c_f32_f16_e32 v78, v92, v96
	v_dot2c_f32_f16_e32 v79, v92, v97
	;; [unrolled: 1-line block ×16, first 2 shown]
	s_waitcnt lgkmcnt(1)
	v_dot2c_f32_f16_e32 v74, v92, v100
	v_dot2c_f32_f16_e32 v75, v92, v101
	;; [unrolled: 1-line block ×16, first 2 shown]
	ds_read_b128 v[92:95], v88 offset:1536
	s_waitcnt lgkmcnt(1)
	v_dot2c_f32_f16_e32 v18, v104, v96
	v_dot2c_f32_f16_e32 v19, v104, v97
	;; [unrolled: 1-line block ×16, first 2 shown]
	ds_read_b128 v[96:99], v89 offset:17920
	v_dot2c_f32_f16_e32 v22, v104, v100
	v_dot2c_f32_f16_e32 v23, v104, v101
	;; [unrolled: 1-line block ×16, first 2 shown]
	ds_read_b128 v[100:103], v89 offset:18176
	ds_read_b128 v[104:107], v88 offset:1792
	s_waitcnt lgkmcnt(2)
	v_dot2c_f32_f16_e32 v78, v92, v96
	v_dot2c_f32_f16_e32 v79, v92, v97
	;; [unrolled: 1-line block ×16, first 2 shown]
	s_waitcnt lgkmcnt(1)
	v_dot2c_f32_f16_e32 v74, v92, v100
	v_dot2c_f32_f16_e32 v75, v92, v101
	;; [unrolled: 1-line block ×16, first 2 shown]
	ds_read_b128 v[92:95], v88 offset:2048
	s_waitcnt lgkmcnt(1)
	v_dot2c_f32_f16_e32 v18, v104, v96
	v_dot2c_f32_f16_e32 v19, v104, v97
	;; [unrolled: 1-line block ×16, first 2 shown]
	ds_read_b128 v[96:99], v89 offset:18432
	v_dot2c_f32_f16_e32 v22, v104, v100
	v_dot2c_f32_f16_e32 v23, v104, v101
	;; [unrolled: 1-line block ×16, first 2 shown]
	ds_read_b128 v[100:103], v89 offset:18688
	ds_read_b128 v[104:107], v88 offset:2304
	s_waitcnt lgkmcnt(2)
	v_dot2c_f32_f16_e32 v78, v92, v96
	v_dot2c_f32_f16_e32 v79, v92, v97
	;; [unrolled: 1-line block ×16, first 2 shown]
	s_waitcnt lgkmcnt(1)
	v_dot2c_f32_f16_e32 v74, v92, v100
	v_dot2c_f32_f16_e32 v75, v92, v101
	;; [unrolled: 1-line block ×16, first 2 shown]
	ds_read_b128 v[92:95], v88 offset:2560
	s_waitcnt lgkmcnt(1)
	v_dot2c_f32_f16_e32 v18, v104, v96
	v_dot2c_f32_f16_e32 v19, v104, v97
	v_dot2c_f32_f16_e32 v16, v104, v98
	v_dot2c_f32_f16_e32 v17, v104, v99
	v_dot2c_f32_f16_e32 v30, v105, v96
	v_dot2c_f32_f16_e32 v31, v105, v97
	v_dot2c_f32_f16_e32 v28, v105, v98
	v_dot2c_f32_f16_e32 v29, v105, v99
	v_dot2c_f32_f16_e32 v34, v106, v96
	v_dot2c_f32_f16_e32 v35, v106, v97
	v_dot2c_f32_f16_e32 v32, v106, v98
	v_dot2c_f32_f16_e32 v33, v106, v99
	v_dot2c_f32_f16_e32 v40, v107, v96
	v_dot2c_f32_f16_e32 v41, v107, v97
	v_dot2c_f32_f16_e32 v46, v107, v98
	v_dot2c_f32_f16_e32 v47, v107, v99
	ds_read_b128 v[96:99], v89 offset:18944
	v_dot2c_f32_f16_e32 v22, v104, v100
	v_dot2c_f32_f16_e32 v23, v104, v101
	;; [unrolled: 1-line block ×16, first 2 shown]
	ds_read_b128 v[100:103], v89 offset:19200
	ds_read_b128 v[104:107], v88 offset:2816
	s_waitcnt lgkmcnt(2)
	v_dot2c_f32_f16_e32 v78, v92, v96
	v_dot2c_f32_f16_e32 v79, v92, v97
	;; [unrolled: 1-line block ×16, first 2 shown]
	s_waitcnt lgkmcnt(1)
	v_dot2c_f32_f16_e32 v74, v92, v100
	v_dot2c_f32_f16_e32 v75, v92, v101
	;; [unrolled: 1-line block ×16, first 2 shown]
	ds_read_b128 v[92:95], v88 offset:3072
	s_waitcnt lgkmcnt(1)
	v_dot2c_f32_f16_e32 v18, v104, v96
	v_dot2c_f32_f16_e32 v19, v104, v97
	;; [unrolled: 1-line block ×16, first 2 shown]
	ds_read_b128 v[96:99], v89 offset:19456
	v_dot2c_f32_f16_e32 v22, v104, v100
	v_dot2c_f32_f16_e32 v23, v104, v101
	;; [unrolled: 1-line block ×16, first 2 shown]
	ds_read_b128 v[100:103], v89 offset:19712
	ds_read_b128 v[104:107], v88 offset:3328
	s_waitcnt lgkmcnt(2)
	v_dot2c_f32_f16_e32 v78, v92, v96
	v_dot2c_f32_f16_e32 v79, v92, v97
	;; [unrolled: 1-line block ×16, first 2 shown]
	s_waitcnt lgkmcnt(1)
	v_dot2c_f32_f16_e32 v74, v92, v100
	v_dot2c_f32_f16_e32 v75, v92, v101
	;; [unrolled: 1-line block ×16, first 2 shown]
	ds_read_b128 v[92:95], v88 offset:3584
	s_waitcnt lgkmcnt(1)
	v_dot2c_f32_f16_e32 v18, v104, v96
	v_dot2c_f32_f16_e32 v19, v104, v97
	v_dot2c_f32_f16_e32 v16, v104, v98
	v_dot2c_f32_f16_e32 v17, v104, v99
	v_dot2c_f32_f16_e32 v30, v105, v96
	v_dot2c_f32_f16_e32 v31, v105, v97
	v_dot2c_f32_f16_e32 v28, v105, v98
	v_dot2c_f32_f16_e32 v29, v105, v99
	v_dot2c_f32_f16_e32 v34, v106, v96
	v_dot2c_f32_f16_e32 v35, v106, v97
	v_dot2c_f32_f16_e32 v32, v106, v98
	v_dot2c_f32_f16_e32 v33, v106, v99
	v_dot2c_f32_f16_e32 v40, v107, v96
	v_dot2c_f32_f16_e32 v41, v107, v97
	v_dot2c_f32_f16_e32 v46, v107, v98
	v_dot2c_f32_f16_e32 v47, v107, v99
	ds_read_b128 v[96:99], v89 offset:19968
	v_dot2c_f32_f16_e32 v22, v104, v100
	v_dot2c_f32_f16_e32 v23, v104, v101
	;; [unrolled: 1-line block ×16, first 2 shown]
	ds_read_b128 v[100:103], v89 offset:20224
	ds_read_b128 v[104:107], v88 offset:3840
	s_waitcnt lgkmcnt(2)
	v_dot2c_f32_f16_e32 v78, v92, v96
	v_dot2c_f32_f16_e32 v79, v92, v97
	;; [unrolled: 1-line block ×16, first 2 shown]
	s_waitcnt lgkmcnt(1)
	v_dot2c_f32_f16_e32 v74, v92, v100
	v_dot2c_f32_f16_e32 v75, v92, v101
	v_dot2c_f32_f16_e32 v72, v92, v102
	v_dot2c_f32_f16_e32 v73, v92, v103
	v_dot2c_f32_f16_e32 v70, v93, v100
	v_dot2c_f32_f16_e32 v71, v93, v101
	v_dot2c_f32_f16_e32 v68, v93, v102
	v_dot2c_f32_f16_e32 v69, v93, v103
	v_dot2c_f32_f16_e32 v58, v94, v100
	v_dot2c_f32_f16_e32 v59, v94, v101
	v_dot2c_f32_f16_e32 v56, v94, v102
	v_dot2c_f32_f16_e32 v57, v94, v103
	v_dot2c_f32_f16_e32 v54, v95, v100
	v_dot2c_f32_f16_e32 v55, v95, v101
	v_dot2c_f32_f16_e32 v52, v95, v102
	v_dot2c_f32_f16_e32 v53, v95, v103
	ds_read_b128 v[92:95], v88 offset:4096
	s_waitcnt lgkmcnt(1)
	v_dot2c_f32_f16_e32 v18, v104, v96
	v_dot2c_f32_f16_e32 v19, v104, v97
	;; [unrolled: 1-line block ×16, first 2 shown]
	ds_read_b128 v[96:99], v89 offset:20480
	v_dot2c_f32_f16_e32 v22, v104, v100
	v_dot2c_f32_f16_e32 v23, v104, v101
	;; [unrolled: 1-line block ×16, first 2 shown]
	ds_read_b128 v[100:103], v89 offset:20736
	ds_read_b128 v[104:107], v88 offset:4352
	s_waitcnt lgkmcnt(2)
	v_dot2c_f32_f16_e32 v78, v92, v96
	v_dot2c_f32_f16_e32 v79, v92, v97
	;; [unrolled: 1-line block ×16, first 2 shown]
	s_waitcnt lgkmcnt(1)
	v_dot2c_f32_f16_e32 v74, v92, v100
	v_dot2c_f32_f16_e32 v75, v92, v101
	;; [unrolled: 1-line block ×16, first 2 shown]
	ds_read_b128 v[92:95], v88 offset:4608
	s_waitcnt lgkmcnt(1)
	v_dot2c_f32_f16_e32 v18, v104, v96
	v_dot2c_f32_f16_e32 v19, v104, v97
	v_dot2c_f32_f16_e32 v16, v104, v98
	v_dot2c_f32_f16_e32 v17, v104, v99
	v_dot2c_f32_f16_e32 v30, v105, v96
	v_dot2c_f32_f16_e32 v31, v105, v97
	v_dot2c_f32_f16_e32 v28, v105, v98
	v_dot2c_f32_f16_e32 v29, v105, v99
	v_dot2c_f32_f16_e32 v34, v106, v96
	v_dot2c_f32_f16_e32 v35, v106, v97
	v_dot2c_f32_f16_e32 v32, v106, v98
	v_dot2c_f32_f16_e32 v33, v106, v99
	v_dot2c_f32_f16_e32 v40, v107, v96
	v_dot2c_f32_f16_e32 v41, v107, v97
	v_dot2c_f32_f16_e32 v46, v107, v98
	v_dot2c_f32_f16_e32 v47, v107, v99
	ds_read_b128 v[96:99], v89 offset:20992
	v_dot2c_f32_f16_e32 v22, v104, v100
	v_dot2c_f32_f16_e32 v23, v104, v101
	;; [unrolled: 1-line block ×16, first 2 shown]
	ds_read_b128 v[100:103], v89 offset:21248
	ds_read_b128 v[104:107], v88 offset:4864
	s_waitcnt lgkmcnt(2)
	v_dot2c_f32_f16_e32 v78, v92, v96
	v_dot2c_f32_f16_e32 v79, v92, v97
	;; [unrolled: 1-line block ×16, first 2 shown]
	s_waitcnt lgkmcnt(1)
	v_dot2c_f32_f16_e32 v74, v92, v100
	v_dot2c_f32_f16_e32 v75, v92, v101
	;; [unrolled: 1-line block ×16, first 2 shown]
	ds_read_b128 v[92:95], v88 offset:5120
	s_waitcnt lgkmcnt(1)
	v_dot2c_f32_f16_e32 v18, v104, v96
	v_dot2c_f32_f16_e32 v19, v104, v97
	;; [unrolled: 1-line block ×16, first 2 shown]
	ds_read_b128 v[96:99], v89 offset:21504
	v_dot2c_f32_f16_e32 v22, v104, v100
	v_dot2c_f32_f16_e32 v23, v104, v101
	;; [unrolled: 1-line block ×16, first 2 shown]
	ds_read_b128 v[100:103], v89 offset:21760
	ds_read_b128 v[104:107], v88 offset:5376
	s_waitcnt lgkmcnt(2)
	v_dot2c_f32_f16_e32 v78, v92, v96
	v_dot2c_f32_f16_e32 v79, v92, v97
	;; [unrolled: 1-line block ×16, first 2 shown]
	s_waitcnt lgkmcnt(1)
	v_dot2c_f32_f16_e32 v74, v92, v100
	v_dot2c_f32_f16_e32 v75, v92, v101
	;; [unrolled: 1-line block ×16, first 2 shown]
	ds_read_b128 v[92:95], v88 offset:5632
	s_waitcnt lgkmcnt(1)
	v_dot2c_f32_f16_e32 v18, v104, v96
	v_dot2c_f32_f16_e32 v19, v104, v97
	;; [unrolled: 1-line block ×16, first 2 shown]
	ds_read_b128 v[96:99], v89 offset:22016
	v_dot2c_f32_f16_e32 v22, v104, v100
	v_dot2c_f32_f16_e32 v23, v104, v101
	;; [unrolled: 1-line block ×16, first 2 shown]
	ds_read_b128 v[100:103], v89 offset:22272
	ds_read_b128 v[104:107], v88 offset:5888
	s_waitcnt lgkmcnt(2)
	v_dot2c_f32_f16_e32 v78, v92, v96
	v_dot2c_f32_f16_e32 v79, v92, v97
	;; [unrolled: 1-line block ×16, first 2 shown]
	s_waitcnt lgkmcnt(1)
	v_dot2c_f32_f16_e32 v74, v92, v100
	v_dot2c_f32_f16_e32 v75, v92, v101
	v_dot2c_f32_f16_e32 v72, v92, v102
	v_dot2c_f32_f16_e32 v73, v92, v103
	v_dot2c_f32_f16_e32 v70, v93, v100
	v_dot2c_f32_f16_e32 v71, v93, v101
	v_dot2c_f32_f16_e32 v68, v93, v102
	v_dot2c_f32_f16_e32 v69, v93, v103
	v_dot2c_f32_f16_e32 v58, v94, v100
	v_dot2c_f32_f16_e32 v59, v94, v101
	v_dot2c_f32_f16_e32 v56, v94, v102
	v_dot2c_f32_f16_e32 v57, v94, v103
	v_dot2c_f32_f16_e32 v54, v95, v100
	v_dot2c_f32_f16_e32 v55, v95, v101
	v_dot2c_f32_f16_e32 v52, v95, v102
	v_dot2c_f32_f16_e32 v53, v95, v103
	ds_read_b128 v[92:95], v88 offset:6144
	s_waitcnt lgkmcnt(1)
	v_dot2c_f32_f16_e32 v18, v104, v96
	v_dot2c_f32_f16_e32 v19, v104, v97
	;; [unrolled: 1-line block ×16, first 2 shown]
	ds_read_b128 v[96:99], v89 offset:22528
	v_dot2c_f32_f16_e32 v22, v104, v100
	v_dot2c_f32_f16_e32 v23, v104, v101
	;; [unrolled: 1-line block ×16, first 2 shown]
	ds_read_b128 v[100:103], v89 offset:22784
	ds_read_b128 v[104:107], v88 offset:6400
	s_waitcnt lgkmcnt(2)
	v_dot2c_f32_f16_e32 v78, v92, v96
	v_dot2c_f32_f16_e32 v79, v92, v97
	;; [unrolled: 1-line block ×16, first 2 shown]
	s_waitcnt lgkmcnt(1)
	v_dot2c_f32_f16_e32 v74, v92, v100
	v_dot2c_f32_f16_e32 v75, v92, v101
	;; [unrolled: 1-line block ×16, first 2 shown]
	ds_read_b128 v[92:95], v88 offset:6656
	s_waitcnt lgkmcnt(1)
	v_dot2c_f32_f16_e32 v18, v104, v96
	v_dot2c_f32_f16_e32 v19, v104, v97
	;; [unrolled: 1-line block ×16, first 2 shown]
	ds_read_b128 v[96:99], v89 offset:23040
	v_dot2c_f32_f16_e32 v22, v104, v100
	v_dot2c_f32_f16_e32 v23, v104, v101
	;; [unrolled: 1-line block ×16, first 2 shown]
	ds_read_b128 v[100:103], v89 offset:23296
	ds_read_b128 v[104:107], v88 offset:6912
	s_waitcnt lgkmcnt(2)
	v_dot2c_f32_f16_e32 v78, v92, v96
	v_dot2c_f32_f16_e32 v79, v92, v97
	;; [unrolled: 1-line block ×16, first 2 shown]
	s_waitcnt lgkmcnt(1)
	v_dot2c_f32_f16_e32 v74, v92, v100
	v_dot2c_f32_f16_e32 v75, v92, v101
	v_dot2c_f32_f16_e32 v72, v92, v102
	v_dot2c_f32_f16_e32 v73, v92, v103
	v_dot2c_f32_f16_e32 v70, v93, v100
	v_dot2c_f32_f16_e32 v71, v93, v101
	v_dot2c_f32_f16_e32 v68, v93, v102
	v_dot2c_f32_f16_e32 v69, v93, v103
	v_dot2c_f32_f16_e32 v58, v94, v100
	v_dot2c_f32_f16_e32 v59, v94, v101
	v_dot2c_f32_f16_e32 v56, v94, v102
	v_dot2c_f32_f16_e32 v57, v94, v103
	v_dot2c_f32_f16_e32 v54, v95, v100
	v_dot2c_f32_f16_e32 v55, v95, v101
	v_dot2c_f32_f16_e32 v52, v95, v102
	v_dot2c_f32_f16_e32 v53, v95, v103
	ds_read_b128 v[92:95], v88 offset:7168
	s_waitcnt lgkmcnt(1)
	v_dot2c_f32_f16_e32 v18, v104, v96
	v_dot2c_f32_f16_e32 v19, v104, v97
	;; [unrolled: 1-line block ×16, first 2 shown]
	ds_read_b128 v[96:99], v89 offset:23552
	v_dot2c_f32_f16_e32 v22, v104, v100
	v_dot2c_f32_f16_e32 v23, v104, v101
	;; [unrolled: 1-line block ×16, first 2 shown]
	ds_read_b128 v[100:103], v89 offset:23808
	ds_read_b128 v[104:107], v88 offset:7424
	s_waitcnt lgkmcnt(2)
	v_dot2c_f32_f16_e32 v78, v92, v96
	v_dot2c_f32_f16_e32 v79, v92, v97
	;; [unrolled: 1-line block ×16, first 2 shown]
	s_waitcnt lgkmcnt(1)
	v_dot2c_f32_f16_e32 v74, v92, v100
	v_dot2c_f32_f16_e32 v75, v92, v101
	;; [unrolled: 1-line block ×16, first 2 shown]
	ds_read_b128 v[92:95], v88 offset:7680
	s_waitcnt lgkmcnt(1)
	v_dot2c_f32_f16_e32 v18, v104, v96
	v_dot2c_f32_f16_e32 v19, v104, v97
	;; [unrolled: 1-line block ×16, first 2 shown]
	ds_read_b128 v[96:99], v89 offset:24064
	v_dot2c_f32_f16_e32 v22, v104, v100
	v_dot2c_f32_f16_e32 v23, v104, v101
	;; [unrolled: 1-line block ×16, first 2 shown]
	ds_read_b128 v[100:103], v89 offset:24320
	ds_read_b128 v[104:107], v88 offset:7936
	ds_write2st64_b32 v90, v4, v2 offset0:32 offset1:34
	ds_write2st64_b32 v90, v1, v0 offset0:36 offset1:38
	;; [unrolled: 1-line block ×8, first 2 shown]
	s_waitcnt lgkmcnt(0)
	s_barrier
	ds_read_b128 v[0:3], v88 offset:8192
	ds_read_b128 v[4:7], v89 offset:24576
	;; [unrolled: 1-line block ×4, first 2 shown]
	v_dot2c_f32_f16_e32 v78, v92, v96
	v_dot2c_f32_f16_e32 v79, v92, v97
	;; [unrolled: 1-line block ×64, first 2 shown]
	s_waitcnt lgkmcnt(2)
	v_dot2c_f32_f16_e32 v78, v0, v4
	v_dot2c_f32_f16_e32 v79, v0, v5
	;; [unrolled: 1-line block ×16, first 2 shown]
	s_waitcnt lgkmcnt(1)
	v_dot2c_f32_f16_e32 v74, v0, v8
	v_dot2c_f32_f16_e32 v75, v0, v9
	;; [unrolled: 1-line block ×16, first 2 shown]
	ds_read_b128 v[0:3], v88 offset:8704
	s_waitcnt lgkmcnt(1)
	v_dot2c_f32_f16_e32 v18, v12, v4
	v_dot2c_f32_f16_e32 v19, v12, v5
	;; [unrolled: 1-line block ×16, first 2 shown]
	ds_read_b128 v[4:7], v89 offset:25088
	v_dot2c_f32_f16_e32 v22, v12, v8
	v_dot2c_f32_f16_e32 v23, v12, v9
	;; [unrolled: 1-line block ×16, first 2 shown]
	ds_read_b128 v[8:11], v89 offset:25344
	ds_read_b128 v[12:15], v88 offset:8960
	s_waitcnt lgkmcnt(2)
	v_dot2c_f32_f16_e32 v78, v0, v4
	v_dot2c_f32_f16_e32 v79, v0, v5
	;; [unrolled: 1-line block ×16, first 2 shown]
	s_waitcnt lgkmcnt(1)
	v_dot2c_f32_f16_e32 v74, v0, v8
	v_dot2c_f32_f16_e32 v75, v0, v9
	;; [unrolled: 1-line block ×16, first 2 shown]
	ds_read_b128 v[0:3], v88 offset:9216
	s_waitcnt lgkmcnt(1)
	v_dot2c_f32_f16_e32 v18, v12, v4
	v_dot2c_f32_f16_e32 v19, v12, v5
	;; [unrolled: 1-line block ×16, first 2 shown]
	ds_read_b128 v[4:7], v89 offset:25600
	v_dot2c_f32_f16_e32 v22, v12, v8
	v_dot2c_f32_f16_e32 v23, v12, v9
	;; [unrolled: 1-line block ×16, first 2 shown]
	ds_read_b128 v[8:11], v89 offset:25856
	ds_read_b128 v[12:15], v88 offset:9472
	s_waitcnt lgkmcnt(2)
	v_dot2c_f32_f16_e32 v78, v0, v4
	v_dot2c_f32_f16_e32 v79, v0, v5
	;; [unrolled: 1-line block ×16, first 2 shown]
	s_waitcnt lgkmcnt(1)
	v_dot2c_f32_f16_e32 v74, v0, v8
	v_dot2c_f32_f16_e32 v75, v0, v9
	;; [unrolled: 1-line block ×16, first 2 shown]
	ds_read_b128 v[0:3], v88 offset:9728
	s_waitcnt lgkmcnt(1)
	v_dot2c_f32_f16_e32 v18, v12, v4
	v_dot2c_f32_f16_e32 v19, v12, v5
	;; [unrolled: 1-line block ×16, first 2 shown]
	ds_read_b128 v[4:7], v89 offset:26112
	v_dot2c_f32_f16_e32 v22, v12, v8
	v_dot2c_f32_f16_e32 v23, v12, v9
	;; [unrolled: 1-line block ×16, first 2 shown]
	ds_read_b128 v[8:11], v89 offset:26368
	ds_read_b128 v[12:15], v88 offset:9984
	s_waitcnt lgkmcnt(2)
	v_dot2c_f32_f16_e32 v78, v0, v4
	v_dot2c_f32_f16_e32 v79, v0, v5
	;; [unrolled: 1-line block ×16, first 2 shown]
	s_waitcnt lgkmcnt(1)
	v_dot2c_f32_f16_e32 v74, v0, v8
	v_dot2c_f32_f16_e32 v75, v0, v9
	;; [unrolled: 1-line block ×16, first 2 shown]
	ds_read_b128 v[0:3], v88 offset:10240
	s_waitcnt lgkmcnt(1)
	v_dot2c_f32_f16_e32 v18, v12, v4
	v_dot2c_f32_f16_e32 v19, v12, v5
	;; [unrolled: 1-line block ×16, first 2 shown]
	ds_read_b128 v[4:7], v89 offset:26624
	v_dot2c_f32_f16_e32 v22, v12, v8
	v_dot2c_f32_f16_e32 v23, v12, v9
	;; [unrolled: 1-line block ×16, first 2 shown]
	ds_read_b128 v[8:11], v89 offset:26880
	ds_read_b128 v[12:15], v88 offset:10496
	s_waitcnt lgkmcnt(2)
	v_dot2c_f32_f16_e32 v78, v0, v4
	v_dot2c_f32_f16_e32 v79, v0, v5
	;; [unrolled: 1-line block ×16, first 2 shown]
	s_waitcnt lgkmcnt(1)
	v_dot2c_f32_f16_e32 v74, v0, v8
	v_dot2c_f32_f16_e32 v75, v0, v9
	;; [unrolled: 1-line block ×16, first 2 shown]
	ds_read_b128 v[0:3], v88 offset:10752
	s_waitcnt lgkmcnt(1)
	v_dot2c_f32_f16_e32 v18, v12, v4
	v_dot2c_f32_f16_e32 v19, v12, v5
	;; [unrolled: 1-line block ×16, first 2 shown]
	ds_read_b128 v[4:7], v89 offset:27136
	v_dot2c_f32_f16_e32 v22, v12, v8
	v_dot2c_f32_f16_e32 v23, v12, v9
	;; [unrolled: 1-line block ×16, first 2 shown]
	ds_read_b128 v[8:11], v89 offset:27392
	ds_read_b128 v[12:15], v88 offset:11008
	s_waitcnt lgkmcnt(2)
	v_dot2c_f32_f16_e32 v78, v0, v4
	v_dot2c_f32_f16_e32 v79, v0, v5
	;; [unrolled: 1-line block ×16, first 2 shown]
	s_waitcnt lgkmcnt(1)
	v_dot2c_f32_f16_e32 v74, v0, v8
	v_dot2c_f32_f16_e32 v75, v0, v9
	;; [unrolled: 1-line block ×16, first 2 shown]
	ds_read_b128 v[0:3], v88 offset:11264
	s_waitcnt lgkmcnt(1)
	v_dot2c_f32_f16_e32 v18, v12, v4
	v_dot2c_f32_f16_e32 v19, v12, v5
	;; [unrolled: 1-line block ×16, first 2 shown]
	ds_read_b128 v[4:7], v89 offset:27648
	v_dot2c_f32_f16_e32 v22, v12, v8
	v_dot2c_f32_f16_e32 v23, v12, v9
	;; [unrolled: 1-line block ×16, first 2 shown]
	ds_read_b128 v[8:11], v89 offset:27904
	ds_read_b128 v[12:15], v88 offset:11520
	s_waitcnt lgkmcnt(2)
	v_dot2c_f32_f16_e32 v78, v0, v4
	v_dot2c_f32_f16_e32 v79, v0, v5
	;; [unrolled: 1-line block ×16, first 2 shown]
	s_waitcnt lgkmcnt(1)
	v_dot2c_f32_f16_e32 v74, v0, v8
	v_dot2c_f32_f16_e32 v75, v0, v9
	;; [unrolled: 1-line block ×16, first 2 shown]
	ds_read_b128 v[0:3], v88 offset:11776
	s_waitcnt lgkmcnt(1)
	v_dot2c_f32_f16_e32 v18, v12, v4
	v_dot2c_f32_f16_e32 v19, v12, v5
	;; [unrolled: 1-line block ×16, first 2 shown]
	ds_read_b128 v[4:7], v89 offset:28160
	v_dot2c_f32_f16_e32 v22, v12, v8
	v_dot2c_f32_f16_e32 v23, v12, v9
	;; [unrolled: 1-line block ×16, first 2 shown]
	ds_read_b128 v[8:11], v89 offset:28416
	ds_read_b128 v[12:15], v88 offset:12032
	s_waitcnt lgkmcnt(2)
	v_dot2c_f32_f16_e32 v78, v0, v4
	v_dot2c_f32_f16_e32 v79, v0, v5
	;; [unrolled: 1-line block ×16, first 2 shown]
	s_waitcnt lgkmcnt(1)
	v_dot2c_f32_f16_e32 v74, v0, v8
	v_dot2c_f32_f16_e32 v75, v0, v9
	;; [unrolled: 1-line block ×16, first 2 shown]
	ds_read_b128 v[0:3], v88 offset:12288
	s_waitcnt lgkmcnt(1)
	v_dot2c_f32_f16_e32 v18, v12, v4
	v_dot2c_f32_f16_e32 v19, v12, v5
	;; [unrolled: 1-line block ×16, first 2 shown]
	ds_read_b128 v[4:7], v89 offset:28672
	v_dot2c_f32_f16_e32 v22, v12, v8
	v_dot2c_f32_f16_e32 v23, v12, v9
	;; [unrolled: 1-line block ×16, first 2 shown]
	ds_read_b128 v[8:11], v89 offset:28928
	ds_read_b128 v[12:15], v88 offset:12544
	s_waitcnt lgkmcnt(2)
	v_dot2c_f32_f16_e32 v78, v0, v4
	v_dot2c_f32_f16_e32 v79, v0, v5
	;; [unrolled: 1-line block ×16, first 2 shown]
	s_waitcnt lgkmcnt(1)
	v_dot2c_f32_f16_e32 v74, v0, v8
	v_dot2c_f32_f16_e32 v75, v0, v9
	;; [unrolled: 1-line block ×16, first 2 shown]
	ds_read_b128 v[0:3], v88 offset:12800
	s_waitcnt lgkmcnt(1)
	v_dot2c_f32_f16_e32 v18, v12, v4
	v_dot2c_f32_f16_e32 v19, v12, v5
	;; [unrolled: 1-line block ×16, first 2 shown]
	ds_read_b128 v[4:7], v89 offset:29184
	v_dot2c_f32_f16_e32 v22, v12, v8
	v_dot2c_f32_f16_e32 v23, v12, v9
	;; [unrolled: 1-line block ×16, first 2 shown]
	ds_read_b128 v[8:11], v89 offset:29440
	ds_read_b128 v[12:15], v88 offset:13056
	s_waitcnt lgkmcnt(2)
	v_dot2c_f32_f16_e32 v78, v0, v4
	v_dot2c_f32_f16_e32 v79, v0, v5
	;; [unrolled: 1-line block ×16, first 2 shown]
	s_waitcnt lgkmcnt(1)
	v_dot2c_f32_f16_e32 v74, v0, v8
	v_dot2c_f32_f16_e32 v75, v0, v9
	;; [unrolled: 1-line block ×16, first 2 shown]
	ds_read_b128 v[0:3], v88 offset:13312
	s_waitcnt lgkmcnt(1)
	v_dot2c_f32_f16_e32 v18, v12, v4
	v_dot2c_f32_f16_e32 v19, v12, v5
	;; [unrolled: 1-line block ×16, first 2 shown]
	ds_read_b128 v[4:7], v89 offset:29696
	v_dot2c_f32_f16_e32 v22, v12, v8
	v_dot2c_f32_f16_e32 v23, v12, v9
	;; [unrolled: 1-line block ×16, first 2 shown]
	ds_read_b128 v[8:11], v89 offset:29952
	ds_read_b128 v[12:15], v88 offset:13568
	s_waitcnt lgkmcnt(2)
	v_dot2c_f32_f16_e32 v78, v0, v4
	v_dot2c_f32_f16_e32 v79, v0, v5
	;; [unrolled: 1-line block ×16, first 2 shown]
	s_waitcnt lgkmcnt(1)
	v_dot2c_f32_f16_e32 v74, v0, v8
	v_dot2c_f32_f16_e32 v75, v0, v9
	;; [unrolled: 1-line block ×16, first 2 shown]
	ds_read_b128 v[0:3], v88 offset:13824
	s_waitcnt lgkmcnt(1)
	v_dot2c_f32_f16_e32 v18, v12, v4
	v_dot2c_f32_f16_e32 v19, v12, v5
	;; [unrolled: 1-line block ×16, first 2 shown]
	ds_read_b128 v[4:7], v89 offset:30208
	v_dot2c_f32_f16_e32 v22, v12, v8
	v_dot2c_f32_f16_e32 v23, v12, v9
	;; [unrolled: 1-line block ×16, first 2 shown]
	ds_read_b128 v[8:11], v89 offset:30464
	ds_read_b128 v[12:15], v88 offset:14080
	s_waitcnt lgkmcnt(2)
	v_dot2c_f32_f16_e32 v78, v0, v4
	v_dot2c_f32_f16_e32 v79, v0, v5
	;; [unrolled: 1-line block ×16, first 2 shown]
	s_waitcnt lgkmcnt(1)
	v_dot2c_f32_f16_e32 v74, v0, v8
	v_dot2c_f32_f16_e32 v75, v0, v9
	;; [unrolled: 1-line block ×16, first 2 shown]
	ds_read_b128 v[0:3], v88 offset:14336
	s_waitcnt lgkmcnt(1)
	v_dot2c_f32_f16_e32 v18, v12, v4
	v_dot2c_f32_f16_e32 v19, v12, v5
	;; [unrolled: 1-line block ×16, first 2 shown]
	ds_read_b128 v[4:7], v89 offset:30720
	v_dot2c_f32_f16_e32 v22, v12, v8
	v_dot2c_f32_f16_e32 v23, v12, v9
	;; [unrolled: 1-line block ×16, first 2 shown]
	ds_read_b128 v[8:11], v89 offset:30976
	ds_read_b128 v[12:15], v88 offset:14592
	s_waitcnt lgkmcnt(2)
	v_dot2c_f32_f16_e32 v78, v0, v4
	v_dot2c_f32_f16_e32 v79, v0, v5
	;; [unrolled: 1-line block ×16, first 2 shown]
	s_waitcnt lgkmcnt(1)
	v_dot2c_f32_f16_e32 v74, v0, v8
	v_dot2c_f32_f16_e32 v75, v0, v9
	;; [unrolled: 1-line block ×16, first 2 shown]
	ds_read_b128 v[0:3], v88 offset:14848
	s_waitcnt lgkmcnt(1)
	v_dot2c_f32_f16_e32 v18, v12, v4
	v_dot2c_f32_f16_e32 v19, v12, v5
	;; [unrolled: 1-line block ×16, first 2 shown]
	ds_read_b128 v[4:7], v89 offset:31232
	v_dot2c_f32_f16_e32 v22, v12, v8
	v_dot2c_f32_f16_e32 v23, v12, v9
	;; [unrolled: 1-line block ×16, first 2 shown]
	ds_read_b128 v[8:11], v89 offset:31488
	ds_read_b128 v[12:15], v88 offset:15104
	s_waitcnt lgkmcnt(2)
	v_dot2c_f32_f16_e32 v78, v0, v4
	v_dot2c_f32_f16_e32 v79, v0, v5
	;; [unrolled: 1-line block ×16, first 2 shown]
	s_waitcnt lgkmcnt(1)
	v_dot2c_f32_f16_e32 v74, v0, v8
	v_dot2c_f32_f16_e32 v75, v0, v9
	;; [unrolled: 1-line block ×16, first 2 shown]
	ds_read_b128 v[0:3], v88 offset:15360
	s_waitcnt lgkmcnt(1)
	v_dot2c_f32_f16_e32 v18, v12, v4
	v_dot2c_f32_f16_e32 v19, v12, v5
	;; [unrolled: 1-line block ×16, first 2 shown]
	ds_read_b128 v[4:7], v89 offset:31744
	v_dot2c_f32_f16_e32 v22, v12, v8
	v_dot2c_f32_f16_e32 v23, v12, v9
	;; [unrolled: 1-line block ×16, first 2 shown]
	ds_read_b128 v[8:11], v89 offset:32000
	ds_read_b128 v[12:15], v88 offset:15616
	v_lshl_or_b32 v109, s57, 7, v85
	v_lshl_add_u32 v108, s54, 7, v83
	s_waitcnt lgkmcnt(2)
	v_dot2c_f32_f16_e32 v78, v0, v4
	v_dot2c_f32_f16_e32 v79, v0, v5
	s_waitcnt lgkmcnt(0)
	v_dot2c_f32_f16_e32 v18, v12, v4
	v_dot2c_f32_f16_e32 v19, v12, v5
	;; [unrolled: 1-line block ×8, first 2 shown]
	v_mul_lo_u32 v12, v109, s40
	v_dot2c_f32_f16_e32 v30, v13, v4
	v_dot2c_f32_f16_e32 v31, v13, v5
	;; [unrolled: 1-line block ×8, first 2 shown]
	v_mad_u64_u32 v[12:13], s[0:1], v108, s41, v[12:13]
	v_dot2c_f32_f16_e32 v76, v0, v6
	v_dot2c_f32_f16_e32 v77, v0, v7
	v_dot2c_f32_f16_e32 v66, v1, v4
	v_dot2c_f32_f16_e32 v67, v1, v5
	v_dot2c_f32_f16_e32 v64, v1, v6
	v_dot2c_f32_f16_e32 v65, v1, v7
	v_dot2c_f32_f16_e32 v62, v2, v4
	v_dot2c_f32_f16_e32 v63, v2, v5
	v_dot2c_f32_f16_e32 v60, v2, v6
	v_dot2c_f32_f16_e32 v61, v2, v7
	v_dot2c_f32_f16_e32 v50, v3, v4
	v_dot2c_f32_f16_e32 v51, v3, v5
	v_dot2c_f32_f16_e32 v48, v3, v6
	v_dot2c_f32_f16_e32 v49, v3, v7
	v_dot2c_f32_f16_e32 v74, v0, v8
	v_dot2c_f32_f16_e32 v75, v0, v9
	v_dot2c_f32_f16_e32 v72, v0, v10
	v_dot2c_f32_f16_e32 v73, v0, v11
	v_dot2c_f32_f16_e32 v70, v1, v8
	v_dot2c_f32_f16_e32 v71, v1, v9
	v_dot2c_f32_f16_e32 v68, v1, v10
	v_dot2c_f32_f16_e32 v69, v1, v11
	v_dot2c_f32_f16_e32 v58, v2, v8
	v_dot2c_f32_f16_e32 v59, v2, v9
	v_dot2c_f32_f16_e32 v56, v2, v10
	v_dot2c_f32_f16_e32 v57, v2, v11
	v_dot2c_f32_f16_e32 v54, v3, v8
	v_dot2c_f32_f16_e32 v55, v3, v9
	v_dot2c_f32_f16_e32 v52, v3, v10
	v_dot2c_f32_f16_e32 v53, v3, v11
	ds_read_b128 v[90:93], v88 offset:15872
	ds_read_b128 v[0:3], v89 offset:32256
	v_add_u32_e32 v84, s40, v12
	v_dot2c_f32_f16_e32 v34, v14, v4
	v_dot2c_f32_f16_e32 v35, v14, v5
	;; [unrolled: 1-line block ×16, first 2 shown]
	ds_read_b128 v[4:7], v89 offset:32512
	ds_read_b128 v[8:11], v88 offset:16128
	v_add_u32_e32 v88, s40, v84
	v_lshlrev_b32_e32 v13, 1, v12
	v_add_lshl_u32 v86, v88, s2, 1
	buffer_load_dwordx2 v[14:15], v13, s[24:27], 0 offen
	v_add_lshl_u32 v82, v84, s2, 1
	buffer_load_dwordx2 v[86:87], v86, s[24:27], 0 offen
	v_add_lshl_u32 v13, v12, s2, 1
	v_lshlrev_b32_e32 v12, 1, v84
	v_lshlrev_b32_e32 v84, 1, v88
	v_add_u32_e32 v88, s40, v88
	v_lshlrev_b32_e32 v89, 1, v88
	s_waitcnt lgkmcnt(2)
	v_dot2c_f32_f16_e32 v78, v90, v0
	v_dot2c_f32_f16_e32 v79, v90, v1
	;; [unrolled: 1-line block ×8, first 2 shown]
	s_waitcnt lgkmcnt(1)
	v_dot2c_f32_f16_e32 v74, v90, v4
	v_dot2c_f32_f16_e32 v75, v90, v5
	;; [unrolled: 1-line block ×8, first 2 shown]
	buffer_load_dwordx2 v[82:83], v82, s[24:27], 0 offen
	v_dot2c_f32_f16_e32 v62, v92, v0
	buffer_load_dwordx2 v[90:91], v89, s[24:27], 0 offen
	v_add_lshl_u32 v89, v88, s2, 1
	v_dot2c_f32_f16_e32 v63, v92, v1
	v_dot2c_f32_f16_e32 v60, v92, v2
	;; [unrolled: 1-line block ×12, first 2 shown]
	buffer_load_dwordx2 v[80:81], v13, s[24:27], 0 offen
	v_dot2c_f32_f16_e32 v55, v93, v5
	v_dot2c_f32_f16_e32 v52, v93, v6
	;; [unrolled: 1-line block ×3, first 2 shown]
	buffer_load_dwordx2 v[92:93], v89, s[24:27], 0 offen
	v_mad_u64_u32 v[88:89], s[0:1], s40, 61, v[88:89]
	v_add_u32_e32 v100, s40, v88
	s_waitcnt lgkmcnt(0)
	v_dot2c_f32_f16_e32 v18, v8, v0
	v_dot2c_f32_f16_e32 v30, v9, v0
	v_lshlrev_b32_e32 v89, 1, v88
	v_dot2c_f32_f16_e32 v34, v10, v0
	v_dot2c_f32_f16_e32 v40, v11, v0
	v_add_u32_e32 v0, s40, v100
	buffer_load_dwordx2 v[94:95], v89, s[24:27], 0 offen
	v_add_lshl_u32 v89, v88, s2, 1
	v_lshlrev_b32_e32 v88, 1, v100
	v_add_lshl_u32 v98, v100, s2, 1
	v_lshlrev_b32_e32 v100, 1, v0
	buffer_load_dwordx2 v[96:97], v89, s[24:27], 0 offen
	v_dot2c_f32_f16_e32 v19, v8, v1
	buffer_load_dwordx2 v[88:89], v88, s[24:27], 0 offen
	v_dot2c_f32_f16_e32 v31, v9, v1
	;; [unrolled: 2-line block ×4, first 2 shown]
	buffer_load_dwordx2 v[84:85], v84, s[24:27], 0 offen
	v_add_lshl_u32 v1, v0, s2, 1
	buffer_load_dwordx2 v[98:99], v98, s[24:27], 0 offen
	v_add_u32_e32 v0, s40, v0
	buffer_load_dwordx2 v[102:103], v1, s[24:27], 0 offen
	v_lshlrev_b32_e32 v1, 1, v0
	buffer_load_dwordx2 v[104:105], v1, s[24:27], 0 offen
	v_add_lshl_u32 v0, v0, s2, 1
	buffer_load_dwordx2 v[106:107], v0, s[24:27], 0 offen
	v_cmp_gt_i32_e32 vcc, s56, v108
	v_cmp_gt_i32_e64 s[0:1], s55, v109
	s_and_b64 s[2:3], s[0:1], vcc
	v_dot2c_f32_f16_e32 v21, v8, v7
	v_dot2c_f32_f16_e32 v25, v9, v7
	v_dot2c_f32_f16_e32 v37, v10, v7
	v_dot2c_f32_f16_e32 v43, v11, v7
	s_waitcnt vmcnt(15)
	v_cndmask_b32_e64 v7, 0, v14, s[2:3]
	v_add_u32_e32 v14, 64, v108
	v_dot2c_f32_f16_e32 v23, v8, v5
	v_dot2c_f32_f16_e32 v27, v9, v5
	;; [unrolled: 1-line block ×4, first 2 shown]
	v_cndmask_b32_e64 v5, 0, v15, s[2:3]
	v_cmp_gt_i32_e64 s[2:3], s56, v14
	s_and_b64 s[0:1], s[0:1], s[2:3]
	v_or_b32_e32 v110, 2, v109
	v_or_b32_e32 v111, 3, v109
	v_or_b32_e32 v0, 64, v109
	v_dot2c_f32_f16_e32 v17, v8, v3
	v_dot2c_f32_f16_e32 v29, v9, v3
	;; [unrolled: 1-line block ×4, first 2 shown]
	v_add_u32_e32 v3, 0x41, v109
	v_dot2c_f32_f16_e32 v16, v8, v2
	v_dot2c_f32_f16_e32 v28, v9, v2
	;; [unrolled: 1-line block ×12, first 2 shown]
	v_cvt_f32_f16_e32 v6, v7
	v_cvt_f32_f16_sdwa v7, v7 dst_sel:DWORD dst_unused:UNUSED_PAD src0_sel:WORD_1
	v_cvt_f32_f16_e32 v10, v5
	v_cvt_f32_f16_sdwa v11, v5 dst_sel:DWORD dst_unused:UNUSED_PAD src0_sel:WORD_1
	v_mul_lo_u32 v8, v109, s18
	v_pk_add_f32 v[6:7], v[78:79], v[6:7]
	v_pk_add_f32 v[10:11], v[76:77], v[10:11]
	s_waitcnt vmcnt(11)
	v_cndmask_b32_e64 v15, 0, v81, s[0:1]
	v_or_b32_e32 v81, 1, v109
	v_cndmask_b32_e64 v80, 0, v80, s[0:1]
	v_cmp_gt_i32_e64 s[0:1], s55, v81
	s_and_b64 s[4:5], s[0:1], vcc
	s_and_b64 s[0:1], s[0:1], s[2:3]
	v_cndmask_b32_e64 v83, 0, v83, s[0:1]
	v_cndmask_b32_e64 v82, 0, v82, s[0:1]
	v_cmp_gt_i32_e64 s[0:1], s55, v110
	v_max_f32_e32 v5, 0, v7
	v_max_f32_e32 v6, 0, v6
	v_cvt_pk_f16_f32 v6, v6, v5
	v_max_f32_e32 v5, 0, v11
	v_max_f32_e32 v7, 0, v10
	v_cvt_f32_f16_e32 v10, v80
	v_cvt_f32_f16_sdwa v11, v80 dst_sel:DWORD dst_unused:UNUSED_PAD src0_sel:WORD_1
	v_bfrev_b32_e32 v76, 1
	v_cvt_pk_f16_f32 v7, v7, v5
	s_waitcnt vmcnt(5)
	v_cndmask_b32_e64 v13, 0, v13, s[4:5]
	v_cndmask_b32_e64 v12, 0, v12, s[4:5]
	s_and_b64 s[4:5], s[0:1], vcc
	s_and_b64 s[0:1], s[0:1], s[2:3]
	v_cndmask_b32_e64 v87, 0, v87, s[0:1]
	v_cndmask_b32_e64 v86, 0, v86, s[0:1]
	v_cmp_gt_i32_e64 s[0:1], s55, v111
	s_waitcnt vmcnt(4)
	v_cndmask_b32_e64 v85, 0, v85, s[4:5]
	v_cndmask_b32_e64 v84, 0, v84, s[4:5]
	s_and_b64 s[4:5], s[0:1], vcc
	s_and_b64 s[0:1], s[0:1], s[2:3]
	v_cndmask_b32_e64 v93, 0, v93, s[0:1]
	v_cndmask_b32_e64 v92, 0, v92, s[0:1]
	v_cmp_gt_i32_e64 s[0:1], s55, v0
	v_cndmask_b32_e64 v91, 0, v91, s[4:5]
	v_cndmask_b32_e64 v90, 0, v90, s[4:5]
	s_and_b64 s[4:5], s[0:1], vcc
	s_and_b64 s[0:1], s[0:1], s[2:3]
	v_cndmask_b32_e64 v2, 0, v94, s[4:5]
	v_cndmask_b32_e64 v4, 0, v97, s[0:1]
	v_cndmask_b32_e64 v94, 0, v96, s[0:1]
	v_cmp_gt_i32_e64 s[0:1], s55, v3
	v_cndmask_b32_e64 v1, 0, v95, s[4:5]
	s_and_b64 s[4:5], s[0:1], vcc
	s_and_b64 s[0:1], s[0:1], s[2:3]
	v_add_u32_e32 v97, 0x42, v109
	s_waitcnt vmcnt(3)
	v_cndmask_b32_e64 v95, 0, v99, s[0:1]
	v_cndmask_b32_e64 v96, 0, v98, s[0:1]
	v_cmp_gt_i32_e64 s[0:1], s55, v97
	v_cndmask_b32_e64 v89, 0, v89, s[4:5]
	v_cndmask_b32_e64 v88, 0, v88, s[4:5]
	s_and_b64 s[4:5], s[0:1], vcc
	s_and_b64 s[0:1], s[0:1], s[2:3]
	v_cndmask_b32_e64 v98, 0, v101, s[4:5]
	s_waitcnt vmcnt(2)
	v_cndmask_b32_e64 v101, 0, v102, s[0:1]
	v_add_u32_e32 v102, 0x43, v109
	v_cndmask_b32_e64 v99, 0, v100, s[4:5]
	v_cndmask_b32_e64 v100, 0, v103, s[0:1]
	v_cmp_gt_i32_e64 s[0:1], s55, v102
	s_and_b64 vcc, s[0:1], vcc
	s_waitcnt vmcnt(1)
	v_cndmask_b32_e32 v103, 0, v105, vcc
	v_cndmask_b32_e32 v104, 0, v104, vcc
	s_and_b64 vcc, s[0:1], s[2:3]
	s_waitcnt vmcnt(0)
	v_cndmask_b32_e32 v105, 0, v107, vcc
	v_cndmask_b32_e32 v106, 0, v106, vcc
	v_mad_u64_u32 v[8:9], s[0:1], v108, s19, v[8:9]
	v_cmp_gt_i32_e32 vcc, s35, v108
	v_cmp_gt_i32_e64 s[2:3], s33, v109
	s_and_b64 s[0:1], s[2:3], vcc
	v_cndmask_b32_e64 v5, v76, 0, s[0:1]
	v_lshl_add_u32 v5, v8, 1, v5
	buffer_store_dwordx2 v[6:7], v5, s[20:23], 0 offen
	v_pk_add_f32 v[6:7], v[74:75], v[10:11]
	v_cvt_f32_f16_e32 v10, v15
	v_cvt_f32_f16_sdwa v11, v15 dst_sel:DWORD dst_unused:UNUSED_PAD src0_sel:WORD_1
	v_max_f32_e32 v7, 0, v7
	v_max_f32_e32 v6, 0, v6
	v_cvt_pk_f16_f32 v6, v6, v7
	v_pk_add_f32 v[10:11], v[72:73], v[10:11]
	v_cmp_gt_i32_e64 s[0:1], s35, v14
	v_max_f32_e32 v7, 0, v11
	v_max_f32_e32 v9, 0, v10
	v_cvt_f32_f16_e32 v10, v82
	v_cvt_f32_f16_sdwa v11, v82 dst_sel:DWORD dst_unused:UNUSED_PAD src0_sel:WORD_1
	s_lshl_b32 s4, s19, 6
	s_and_b64 s[2:3], s[2:3], s[0:1]
	v_add_u32_e32 v5, s4, v8
	v_cvt_pk_f16_f32 v7, v9, v7
	v_cndmask_b32_e64 v9, v76, 0, s[2:3]
	v_lshl_add_u32 v9, v5, 1, v9
	buffer_store_dwordx2 v[6:7], v9, s[20:23], 0 offen
	v_pk_add_f32 v[6:7], v[70:71], v[10:11]
	v_cvt_f32_f16_e32 v10, v83
	v_cvt_f32_f16_sdwa v11, v83 dst_sel:DWORD dst_unused:UNUSED_PAD src0_sel:WORD_1
	v_max_f32_e32 v7, 0, v7
	v_max_f32_e32 v6, 0, v6
	v_cmp_gt_i32_e64 s[2:3], s33, v81
	v_pk_add_f32 v[10:11], v[68:69], v[10:11]
	v_cvt_pk_f16_f32 v6, v6, v7
	v_max_f32_e32 v7, 0, v11
	v_max_f32_e32 v9, 0, v10
	s_and_b64 s[6:7], s[2:3], s[0:1]
	v_add_u32_e32 v5, s18, v5
	v_cvt_pk_f16_f32 v7, v9, v7
	v_cndmask_b32_e64 v9, v76, 0, s[6:7]
	v_cvt_f32_f16_e32 v10, v12
	v_cvt_f32_f16_sdwa v11, v12 dst_sel:DWORD dst_unused:UNUSED_PAD src0_sel:WORD_1
	v_lshl_add_u32 v9, v5, 1, v9
	buffer_store_dwordx2 v[6:7], v9, s[20:23], 0 offen
	v_add_u32_e32 v12, s18, v8
	v_cvt_f32_f16_e32 v8, v13
	v_cvt_f32_f16_sdwa v9, v13 dst_sel:DWORD dst_unused:UNUSED_PAD src0_sel:WORD_1
	v_pk_add_f32 v[6:7], v[66:67], v[10:11]
	s_and_b64 s[2:3], s[2:3], vcc
	v_max_f32_e32 v7, 0, v7
	v_max_f32_e32 v6, 0, v6
	v_pk_add_f32 v[8:9], v[64:65], v[8:9]
	v_cvt_pk_f16_f32 v6, v6, v7
	v_max_f32_e32 v7, 0, v9
	v_max_f32_e32 v8, 0, v8
	v_cvt_pk_f16_f32 v7, v8, v7
	v_cvt_f32_f16_e32 v8, v84
	v_cvt_f32_f16_sdwa v9, v84 dst_sel:DWORD dst_unused:UNUSED_PAD src0_sel:WORD_1
	v_cndmask_b32_e64 v10, v76, 0, s[2:3]
	v_lshl_add_u32 v10, v12, 1, v10
	buffer_store_dwordx2 v[6:7], v10, s[20:23], 0 offen
	v_pk_add_f32 v[6:7], v[62:63], v[8:9]
	v_cvt_f32_f16_e32 v8, v85
	v_cvt_f32_f16_sdwa v9, v85 dst_sel:DWORD dst_unused:UNUSED_PAD src0_sel:WORD_1
	v_max_f32_e32 v7, 0, v7
	v_max_f32_e32 v6, 0, v6
	v_cvt_pk_f16_f32 v6, v6, v7
	v_pk_add_f32 v[8:9], v[60:61], v[8:9]
	v_cmp_gt_i32_e64 s[2:3], s33, v110
	v_max_f32_e32 v7, 0, v9
	v_max_f32_e32 v8, 0, v8
	v_cvt_pk_f16_f32 v7, v8, v7
	v_cvt_f32_f16_e32 v8, v86
	v_cvt_f32_f16_sdwa v9, v86 dst_sel:DWORD dst_unused:UNUSED_PAD src0_sel:WORD_1
	s_and_b64 s[6:7], s[2:3], vcc
	v_add_u32_e32 v10, s18, v12
	v_cndmask_b32_e64 v11, v76, 0, s[6:7]
	v_lshl_add_u32 v10, v10, 1, v11
	buffer_store_dwordx2 v[6:7], v10, s[20:23], 0 offen
	v_pk_add_f32 v[6:7], v[58:59], v[8:9]
	v_cvt_f32_f16_e32 v8, v87
	v_cvt_f32_f16_sdwa v9, v87 dst_sel:DWORD dst_unused:UNUSED_PAD src0_sel:WORD_1
	v_max_f32_e32 v7, 0, v7
	v_max_f32_e32 v6, 0, v6
	v_cvt_pk_f16_f32 v6, v6, v7
	v_pk_add_f32 v[8:9], v[56:57], v[8:9]
	s_and_b64 s[2:3], s[2:3], s[0:1]
	v_max_f32_e32 v7, 0, v9
	v_max_f32_e32 v8, 0, v8
	v_cvt_pk_f16_f32 v7, v8, v7
	v_cvt_f32_f16_e32 v8, v92
	v_cvt_f32_f16_sdwa v9, v92 dst_sel:DWORD dst_unused:UNUSED_PAD src0_sel:WORD_1
	v_add_u32_e32 v5, s18, v5
	v_cndmask_b32_e64 v10, v76, 0, s[2:3]
	v_lshl_add_u32 v10, v5, 1, v10
	buffer_store_dwordx2 v[6:7], v10, s[20:23], 0 offen
	v_pk_add_f32 v[6:7], v[54:55], v[8:9]
	v_cvt_f32_f16_e32 v8, v93
	v_cvt_f32_f16_sdwa v9, v93 dst_sel:DWORD dst_unused:UNUSED_PAD src0_sel:WORD_1
	v_max_f32_e32 v7, 0, v7
	v_max_f32_e32 v6, 0, v6
	v_cvt_pk_f16_f32 v6, v6, v7
	v_pk_add_f32 v[8:9], v[52:53], v[8:9]
	v_cmp_gt_i32_e64 s[2:3], s33, v111
	v_max_f32_e32 v7, 0, v9
	v_max_f32_e32 v8, 0, v8
	v_cvt_pk_f16_f32 v7, v8, v7
	v_cvt_f32_f16_e32 v8, v90
	v_cvt_f32_f16_sdwa v9, v90 dst_sel:DWORD dst_unused:UNUSED_PAD src0_sel:WORD_1
	s_and_b64 s[6:7], s[2:3], s[0:1]
	v_add_u32_e32 v10, s18, v5
	v_cndmask_b32_e64 v11, v76, 0, s[6:7]
	v_lshl_add_u32 v11, v10, 1, v11
	buffer_store_dwordx2 v[6:7], v11, s[20:23], 0 offen
	v_pk_add_f32 v[6:7], v[50:51], v[8:9]
	v_cvt_f32_f16_e32 v8, v91
	v_cvt_f32_f16_sdwa v9, v91 dst_sel:DWORD dst_unused:UNUSED_PAD src0_sel:WORD_1
	v_max_f32_e32 v7, 0, v7
	v_max_f32_e32 v6, 0, v6
	v_cvt_pk_f16_f32 v6, v6, v7
	v_pk_add_f32 v[8:9], v[48:49], v[8:9]
	s_and_b64 s[2:3], s[2:3], vcc
	v_max_f32_e32 v7, 0, v9
	v_max_f32_e32 v8, 0, v8
	v_subrev_u32_e32 v11, s4, v10
	v_cvt_pk_f16_f32 v7, v8, v7
	v_cndmask_b32_e64 v8, v76, 0, s[2:3]
	v_lshl_add_u32 v12, v11, 1, v8
	v_cvt_f32_f16_e32 v8, v104
	v_cvt_f32_f16_sdwa v9, v104 dst_sel:DWORD dst_unused:UNUSED_PAD src0_sel:WORD_1
	buffer_store_dwordx2 v[6:7], v12, s[20:23], 0 offen
	v_cmp_gt_i32_e64 s[2:3], s33, v102
	s_lshl_b32 s5, s18, 6
	v_pk_add_f32 v[6:7], v[40:41], v[8:9]
	v_cvt_f32_f16_e32 v8, v103
	v_cvt_f32_f16_sdwa v9, v103 dst_sel:DWORD dst_unused:UNUSED_PAD src0_sel:WORD_1
	v_max_f32_e32 v7, 0, v7
	v_max_f32_e32 v6, 0, v6
	v_cvt_pk_f16_f32 v6, v6, v7
	v_pk_add_f32 v[8:9], v[46:47], v[8:9]
	s_and_b64 s[6:7], s[2:3], vcc
	v_max_f32_e32 v7, 0, v9
	v_max_f32_e32 v8, 0, v8
	v_cvt_pk_f16_f32 v7, v8, v7
	v_cvt_f32_f16_e32 v8, v106
	v_cvt_f32_f16_sdwa v9, v106 dst_sel:DWORD dst_unused:UNUSED_PAD src0_sel:WORD_1
	v_add_u32_e32 v11, s5, v11
	v_cndmask_b32_e64 v12, v76, 0, s[6:7]
	v_lshl_add_u32 v11, v11, 1, v12
	buffer_store_dwordx2 v[6:7], v11, s[20:23], 0 offen
	v_pk_add_f32 v[6:7], v[44:45], v[8:9]
	v_cvt_f32_f16_e32 v8, v105
	v_cvt_f32_f16_sdwa v9, v105 dst_sel:DWORD dst_unused:UNUSED_PAD src0_sel:WORD_1
	v_max_f32_e32 v7, 0, v7
	v_max_f32_e32 v6, 0, v6
	v_cvt_pk_f16_f32 v6, v6, v7
	v_pk_add_f32 v[8:9], v[42:43], v[8:9]
	s_and_b64 s[2:3], s[2:3], s[0:1]
	v_max_f32_e32 v7, 0, v9
	v_max_f32_e32 v8, 0, v8
	v_cvt_pk_f16_f32 v7, v8, v7
	v_cvt_f32_f16_e32 v8, v101
	v_cvt_f32_f16_sdwa v9, v101 dst_sel:DWORD dst_unused:UNUSED_PAD src0_sel:WORD_1
	v_add_u32_e32 v10, s5, v10
	v_cndmask_b32_e64 v11, v76, 0, s[2:3]
	v_lshl_add_u32 v10, v10, 1, v11
	buffer_store_dwordx2 v[6:7], v10, s[20:23], 0 offen
	v_pk_add_f32 v[6:7], v[38:39], v[8:9]
	v_cvt_f32_f16_e32 v8, v100
	v_cvt_f32_f16_sdwa v9, v100 dst_sel:DWORD dst_unused:UNUSED_PAD src0_sel:WORD_1
	v_max_f32_e32 v7, 0, v7
	v_max_f32_e32 v6, 0, v6
	v_cvt_pk_f16_f32 v6, v6, v7
	v_pk_add_f32 v[8:9], v[36:37], v[8:9]
	v_cmp_ge_i32_e64 s[2:3], s33, v102
	v_max_f32_e32 v7, 0, v9
	v_max_f32_e32 v8, 0, v8
	v_cvt_pk_f16_f32 v7, v8, v7
	v_cvt_f32_f16_e32 v8, v99
	v_cvt_f32_f16_sdwa v9, v99 dst_sel:DWORD dst_unused:UNUSED_PAD src0_sel:WORD_1
	s_and_b64 s[2:3], s[2:3], s[0:1]
	v_add_u32_e32 v5, s5, v5
	v_cndmask_b32_e64 v10, v76, 0, s[2:3]
	v_lshl_add_u32 v10, v5, 1, v10
	buffer_store_dwordx2 v[6:7], v10, s[20:23], 0 offen
	v_pk_add_f32 v[6:7], v[34:35], v[8:9]
	v_cvt_f32_f16_e32 v8, v98
	v_cvt_f32_f16_sdwa v9, v98 dst_sel:DWORD dst_unused:UNUSED_PAD src0_sel:WORD_1
	v_max_f32_e32 v7, 0, v7
	v_max_f32_e32 v6, 0, v6
	v_cvt_pk_f16_f32 v6, v6, v7
	v_pk_add_f32 v[8:9], v[32:33], v[8:9]
	v_cmp_gt_i32_e64 s[2:3], s33, v97
	v_max_f32_e32 v7, 0, v9
	v_max_f32_e32 v8, 0, v8
	v_cvt_pk_f16_f32 v7, v8, v7
	v_cvt_f32_f16_e32 v8, v88
	v_cvt_f32_f16_sdwa v9, v88 dst_sel:DWORD dst_unused:UNUSED_PAD src0_sel:WORD_1
	s_and_b64 s[2:3], s[2:3], vcc
	v_subrev_u32_e32 v5, s4, v5
	v_cndmask_b32_e64 v10, v76, 0, s[2:3]
	v_lshl_add_u32 v10, v5, 1, v10
	buffer_store_dwordx2 v[6:7], v10, s[20:23], 0 offen
	v_pk_add_f32 v[6:7], v[30:31], v[8:9]
	v_cvt_f32_f16_e32 v8, v89
	v_cvt_f32_f16_sdwa v9, v89 dst_sel:DWORD dst_unused:UNUSED_PAD src0_sel:WORD_1
	v_max_f32_e32 v7, 0, v7
	v_max_f32_e32 v6, 0, v6
	v_cvt_pk_f16_f32 v6, v6, v7
	v_pk_add_f32 v[8:9], v[28:29], v[8:9]
	v_cmp_ge_i32_e64 s[2:3], s33, v97
	v_max_f32_e32 v7, 0, v9
	v_max_f32_e32 v8, 0, v8
	v_cvt_pk_f16_f32 v7, v8, v7
	v_cvt_f32_f16_e32 v8, v96
	v_cvt_f32_f16_sdwa v9, v96 dst_sel:DWORD dst_unused:UNUSED_PAD src0_sel:WORD_1
	s_and_b64 s[2:3], s[2:3], vcc
	v_subrev_u32_e32 v5, s18, v5
	v_cndmask_b32_e64 v10, v76, 0, s[2:3]
	v_lshl_add_u32 v10, v5, 1, v10
	buffer_store_dwordx2 v[6:7], v10, s[20:23], 0 offen
	v_pk_add_f32 v[6:7], v[26:27], v[8:9]
	v_cvt_f32_f16_e32 v8, v95
	v_cvt_f32_f16_sdwa v9, v95 dst_sel:DWORD dst_unused:UNUSED_PAD src0_sel:WORD_1
	v_max_f32_e32 v7, 0, v7
	v_max_f32_e32 v6, 0, v6
	v_cvt_pk_f16_f32 v6, v6, v7
	v_pk_add_f32 v[8:9], v[24:25], v[8:9]
	v_cmp_gt_i32_e64 s[2:3], s33, v3
	v_max_f32_e32 v7, 0, v9
	v_max_f32_e32 v8, 0, v8
	v_cvt_pk_f16_f32 v7, v8, v7
	v_cvt_f32_f16_e32 v8, v94
	v_cvt_f32_f16_sdwa v9, v94 dst_sel:DWORD dst_unused:UNUSED_PAD src0_sel:WORD_1
	s_and_b64 s[2:3], s[2:3], s[0:1]
	v_add_u32_e32 v5, s4, v5
	v_cndmask_b32_e64 v10, v76, 0, s[2:3]
	v_lshl_add_u32 v10, v5, 1, v10
	buffer_store_dwordx2 v[6:7], v10, s[20:23], 0 offen
	v_pk_add_f32 v[6:7], v[22:23], v[8:9]
	v_cvt_f32_f16_e32 v8, v4
	v_cvt_f32_f16_sdwa v9, v4 dst_sel:DWORD dst_unused:UNUSED_PAD src0_sel:WORD_1
	v_cmp_ge_i32_e64 s[2:3], s33, v3
	v_subrev_u32_e32 v10, s18, v5
	v_max_f32_e32 v4, 0, v7
	v_max_f32_e32 v5, 0, v6
	v_pk_add_f32 v[6:7], v[20:21], v[8:9]
	s_and_b64 s[0:1], s[2:3], s[0:1]
	v_cvt_pk_f16_f32 v4, v5, v4
	v_max_f32_e32 v5, 0, v7
	v_max_f32_e32 v6, 0, v6
	v_cndmask_b32_e64 v3, v76, 0, s[0:1]
	v_cvt_pk_f16_f32 v5, v6, v5
	v_cvt_f32_f16_e32 v6, v2
	v_cvt_f32_f16_sdwa v7, v2 dst_sel:DWORD dst_unused:UNUSED_PAD src0_sel:WORD_1
	v_lshl_add_u32 v2, v10, 1, v3
	buffer_store_dwordx2 v[4:5], v2, s[20:23], 0 offen
	v_cvt_f32_f16_e32 v4, v1
	v_cvt_f32_f16_sdwa v5, v1 dst_sel:DWORD dst_unused:UNUSED_PAD src0_sel:WORD_1
	v_pk_add_f32 v[2:3], v[18:19], v[6:7]
	v_cmp_gt_i32_e64 s[0:1], s33, v0
	v_max_f32_e32 v1, 0, v3
	v_max_f32_e32 v2, 0, v2
	v_pk_add_f32 v[4:5], v[16:17], v[4:5]
	s_and_b64 s[0:1], s[0:1], vcc
	v_subrev_u32_e32 v8, s4, v10
	v_cvt_pk_f16_f32 v2, v2, v1
	v_max_f32_e32 v1, 0, v5
	v_max_f32_e32 v3, 0, v4
	v_cndmask_b32_e64 v0, v76, 0, s[0:1]
	v_cvt_pk_f16_f32 v3, v3, v1
	v_lshl_add_u32 v0, v8, 1, v0
	buffer_store_dwordx2 v[2:3], v0, s[20:23], 0 offen
	s_endpgm
	.section	.rodata,"a",@progbits
	.p2align	6, 0x0
	.amdhsa_kernel _ZN2ck16tensor_operation6device12_GLOBAL__N_137kernel_grouped_conv_fwd_dl_multiple_dINS_32GridwiseGemmDlMultipleD_km_kn_mnILi256EDF16_fNS_5TupleIJDF16_EEEDF16_NS0_12element_wise11PassThroughES8_NS7_7AddReluELNS_25InMemoryDataOperationEnumE0ENS_16TensorDescriptorINS5_IJNS_5EmbedINS5_IJiiiiEEESD_Lb0EEENS_11PassThroughIiEENS_3PadIiiiLb0EEESI_SG_SG_NSC_INS5_IJiiEEESJ_Lb0EEESK_SG_NS_23Merge_v2_magic_divisionINS5_IJiiiEEEEESN_NS_8RightPadIiiLb0EEESP_NS_7UnMergeISJ_Lb0EEESG_EEENS5_IJNS_8SequenceIJLi0EEEENST_IJLi1EEEENST_IJLi2EEEENST_IJLi3EEEENST_IJLi4EEEENST_IJLi5EEEENST_IJLi6EEEENST_IJLi7EEEENST_IJLi8EEEENST_IJLi9ELi11ELi13EEEENST_IJLi10ELi12ELi14EEEENST_IJLi15EEEENST_IJLi16EEEENST_IJLi18EEEENST_IJLi17EEEEEEENS5_IJNST_IJLi1ELi2ELi3ELi4EEEESZ_S10_S11_S12_NST_IJLi9EEEENST_IJLi10ELi11EEEENST_IJLi12ELi13EEEENST_IJLi14EEEES15_S16_S18_S17_NST_IJLi19ELi20EEEENST_IJLi21EEEEEEENST_IJLi19ELi21ELi20EEEElEENSB_INS5_IJSR_SP_SP_SR_SG_EEENS5_IJSU_SV_SW_SY_SX_EEENS5_IJNST_IJLi1ELi2EEEESX_SY_NST_IJLi5ELi6EEEES11_EEENST_IJLi5ELi7ELi6EEEElEENSB_INS5_IJSK_SP_SP_EEENS5_IJSU_SV_SW_EEENS5_IJS1M_SX_SY_EEENST_IJLi3ELi4EEEElEELi128ELi128ELi16ELi2ELi4ELi4ELi1ENST_IJLi8ELi2EEEES1W_NST_IJLi8ELi1ELi1ELi2EEEENST_IJLi2ELi1ELi128ELi1EEEENST_IJLi1ELi2ELi0ELi3EEEES1Z_NST_IJLi4ELi1ELi1ELi2EEEES1Z_NST_IJLi1ELi1ELi1ELi2EEEES1X_S1Y_S1Z_S1Z_S20_S1Z_S21_NST_IJLi0ELi1ELi2ELi3ELi4ELi5EEEELi5ELi4EEEDF16_NS5_IJPKDF16_EEEDF16_S8_S8_S9_NSB_INS5_IJSE_SG_SI_SI_SG_SG_SK_SK_SG_SN_SN_SP_SP_SR_SG_SG_NSQ_INS5_IJiNS_17integral_constantIiLi128EEEEEELb0EEENSF_INS27_IiLi2EEEEEEEENS5_IJSU_SV_SW_SX_SY_SZ_S10_S11_S12_S13_S14_S15_S16_S17_S18_NST_IJLi19EEEES1G_NST_IJLi20EEEEEEENS5_IJS1A_SZ_S10_S11_S12_S1B_S1C_S1D_S1E_S15_S16_S18_S17_S1F_S1G_NST_IJLi22EEEENST_IJLi23ELi24EEEENST_IJLi25EEEEEEENST_IJLi22ELi23ELi24ELi25EEEElEENSB_INS5_IJSR_SP_SP_SR_SG_SG_S2A_S2C_EEENS5_IJSU_SV_SW_SY_SX_SZ_S11_S10_EEENS5_IJS1M_SX_SY_S1N_S11_S12_NST_IJLi9ELi10EEEENST_IJLi11EEEEEEENST_IJLi8ELi9ELi10ELi11EEEElEENS5_IJNSB_INS5_IJSK_SP_SP_NSQ_INS5_IJiS2B_NS27_IiLi64EEEEEELb0EEES2W_EEENS5_IJSU_SV_SW_SX_SY_EEENS5_IJS1M_SX_SY_NST_IJLi5ELi6ELi7EEEENST_IJLi8ELi9ELi10EEEEEEENST_IJLi5ELi6ELi7ELi8ELi9ELi10EEEElEEEEES33_NS_31BlockToCTileMap_M00_N00_M01_N01ILi128ELi128ES1V_Lb0EEENS1_30ComputePtrOffsetOfStridedBatchILi1ELi1ELi1EvEELb1ELb1EEEvPKT0_S3B_T1_PT2_T3_T4_T5_iT6_T7_T8_T9_T10_T11_
		.amdhsa_group_segment_fixed_size 32768
		.amdhsa_private_segment_fixed_size 0
		.amdhsa_kernarg_size 968
		.amdhsa_user_sgpr_count 2
		.amdhsa_user_sgpr_dispatch_ptr 0
		.amdhsa_user_sgpr_queue_ptr 0
		.amdhsa_user_sgpr_kernarg_segment_ptr 1
		.amdhsa_user_sgpr_dispatch_id 0
		.amdhsa_user_sgpr_kernarg_preload_length 0
		.amdhsa_user_sgpr_kernarg_preload_offset 0
		.amdhsa_user_sgpr_private_segment_size 0
		.amdhsa_uses_dynamic_stack 0
		.amdhsa_enable_private_segment 0
		.amdhsa_system_sgpr_workgroup_id_x 1
		.amdhsa_system_sgpr_workgroup_id_y 0
		.amdhsa_system_sgpr_workgroup_id_z 0
		.amdhsa_system_sgpr_workgroup_info 0
		.amdhsa_system_vgpr_workitem_id 0
		.amdhsa_next_free_vgpr 136
		.amdhsa_next_free_sgpr 96
		.amdhsa_accum_offset 136
		.amdhsa_reserve_vcc 1
		.amdhsa_float_round_mode_32 0
		.amdhsa_float_round_mode_16_64 0
		.amdhsa_float_denorm_mode_32 3
		.amdhsa_float_denorm_mode_16_64 3
		.amdhsa_dx10_clamp 1
		.amdhsa_ieee_mode 1
		.amdhsa_fp16_overflow 0
		.amdhsa_tg_split 0
		.amdhsa_exception_fp_ieee_invalid_op 0
		.amdhsa_exception_fp_denorm_src 0
		.amdhsa_exception_fp_ieee_div_zero 0
		.amdhsa_exception_fp_ieee_overflow 0
		.amdhsa_exception_fp_ieee_underflow 0
		.amdhsa_exception_fp_ieee_inexact 0
		.amdhsa_exception_int_div_zero 0
	.end_amdhsa_kernel
	.section	.text._ZN2ck16tensor_operation6device12_GLOBAL__N_137kernel_grouped_conv_fwd_dl_multiple_dINS_32GridwiseGemmDlMultipleD_km_kn_mnILi256EDF16_fNS_5TupleIJDF16_EEEDF16_NS0_12element_wise11PassThroughES8_NS7_7AddReluELNS_25InMemoryDataOperationEnumE0ENS_16TensorDescriptorINS5_IJNS_5EmbedINS5_IJiiiiEEESD_Lb0EEENS_11PassThroughIiEENS_3PadIiiiLb0EEESI_SG_SG_NSC_INS5_IJiiEEESJ_Lb0EEESK_SG_NS_23Merge_v2_magic_divisionINS5_IJiiiEEEEESN_NS_8RightPadIiiLb0EEESP_NS_7UnMergeISJ_Lb0EEESG_EEENS5_IJNS_8SequenceIJLi0EEEENST_IJLi1EEEENST_IJLi2EEEENST_IJLi3EEEENST_IJLi4EEEENST_IJLi5EEEENST_IJLi6EEEENST_IJLi7EEEENST_IJLi8EEEENST_IJLi9ELi11ELi13EEEENST_IJLi10ELi12ELi14EEEENST_IJLi15EEEENST_IJLi16EEEENST_IJLi18EEEENST_IJLi17EEEEEEENS5_IJNST_IJLi1ELi2ELi3ELi4EEEESZ_S10_S11_S12_NST_IJLi9EEEENST_IJLi10ELi11EEEENST_IJLi12ELi13EEEENST_IJLi14EEEES15_S16_S18_S17_NST_IJLi19ELi20EEEENST_IJLi21EEEEEEENST_IJLi19ELi21ELi20EEEElEENSB_INS5_IJSR_SP_SP_SR_SG_EEENS5_IJSU_SV_SW_SY_SX_EEENS5_IJNST_IJLi1ELi2EEEESX_SY_NST_IJLi5ELi6EEEES11_EEENST_IJLi5ELi7ELi6EEEElEENSB_INS5_IJSK_SP_SP_EEENS5_IJSU_SV_SW_EEENS5_IJS1M_SX_SY_EEENST_IJLi3ELi4EEEElEELi128ELi128ELi16ELi2ELi4ELi4ELi1ENST_IJLi8ELi2EEEES1W_NST_IJLi8ELi1ELi1ELi2EEEENST_IJLi2ELi1ELi128ELi1EEEENST_IJLi1ELi2ELi0ELi3EEEES1Z_NST_IJLi4ELi1ELi1ELi2EEEES1Z_NST_IJLi1ELi1ELi1ELi2EEEES1X_S1Y_S1Z_S1Z_S20_S1Z_S21_NST_IJLi0ELi1ELi2ELi3ELi4ELi5EEEELi5ELi4EEEDF16_NS5_IJPKDF16_EEEDF16_S8_S8_S9_NSB_INS5_IJSE_SG_SI_SI_SG_SG_SK_SK_SG_SN_SN_SP_SP_SR_SG_SG_NSQ_INS5_IJiNS_17integral_constantIiLi128EEEEEELb0EEENSF_INS27_IiLi2EEEEEEEENS5_IJSU_SV_SW_SX_SY_SZ_S10_S11_S12_S13_S14_S15_S16_S17_S18_NST_IJLi19EEEES1G_NST_IJLi20EEEEEEENS5_IJS1A_SZ_S10_S11_S12_S1B_S1C_S1D_S1E_S15_S16_S18_S17_S1F_S1G_NST_IJLi22EEEENST_IJLi23ELi24EEEENST_IJLi25EEEEEEENST_IJLi22ELi23ELi24ELi25EEEElEENSB_INS5_IJSR_SP_SP_SR_SG_SG_S2A_S2C_EEENS5_IJSU_SV_SW_SY_SX_SZ_S11_S10_EEENS5_IJS1M_SX_SY_S1N_S11_S12_NST_IJLi9ELi10EEEENST_IJLi11EEEEEEENST_IJLi8ELi9ELi10ELi11EEEElEENS5_IJNSB_INS5_IJSK_SP_SP_NSQ_INS5_IJiS2B_NS27_IiLi64EEEEEELb0EEES2W_EEENS5_IJSU_SV_SW_SX_SY_EEENS5_IJS1M_SX_SY_NST_IJLi5ELi6ELi7EEEENST_IJLi8ELi9ELi10EEEEEEENST_IJLi5ELi6ELi7ELi8ELi9ELi10EEEElEEEEES33_NS_31BlockToCTileMap_M00_N00_M01_N01ILi128ELi128ES1V_Lb0EEENS1_30ComputePtrOffsetOfStridedBatchILi1ELi1ELi1EvEELb1ELb1EEEvPKT0_S3B_T1_PT2_T3_T4_T5_iT6_T7_T8_T9_T10_T11_,"axG",@progbits,_ZN2ck16tensor_operation6device12_GLOBAL__N_137kernel_grouped_conv_fwd_dl_multiple_dINS_32GridwiseGemmDlMultipleD_km_kn_mnILi256EDF16_fNS_5TupleIJDF16_EEEDF16_NS0_12element_wise11PassThroughES8_NS7_7AddReluELNS_25InMemoryDataOperationEnumE0ENS_16TensorDescriptorINS5_IJNS_5EmbedINS5_IJiiiiEEESD_Lb0EEENS_11PassThroughIiEENS_3PadIiiiLb0EEESI_SG_SG_NSC_INS5_IJiiEEESJ_Lb0EEESK_SG_NS_23Merge_v2_magic_divisionINS5_IJiiiEEEEESN_NS_8RightPadIiiLb0EEESP_NS_7UnMergeISJ_Lb0EEESG_EEENS5_IJNS_8SequenceIJLi0EEEENST_IJLi1EEEENST_IJLi2EEEENST_IJLi3EEEENST_IJLi4EEEENST_IJLi5EEEENST_IJLi6EEEENST_IJLi7EEEENST_IJLi8EEEENST_IJLi9ELi11ELi13EEEENST_IJLi10ELi12ELi14EEEENST_IJLi15EEEENST_IJLi16EEEENST_IJLi18EEEENST_IJLi17EEEEEEENS5_IJNST_IJLi1ELi2ELi3ELi4EEEESZ_S10_S11_S12_NST_IJLi9EEEENST_IJLi10ELi11EEEENST_IJLi12ELi13EEEENST_IJLi14EEEES15_S16_S18_S17_NST_IJLi19ELi20EEEENST_IJLi21EEEEEEENST_IJLi19ELi21ELi20EEEElEENSB_INS5_IJSR_SP_SP_SR_SG_EEENS5_IJSU_SV_SW_SY_SX_EEENS5_IJNST_IJLi1ELi2EEEESX_SY_NST_IJLi5ELi6EEEES11_EEENST_IJLi5ELi7ELi6EEEElEENSB_INS5_IJSK_SP_SP_EEENS5_IJSU_SV_SW_EEENS5_IJS1M_SX_SY_EEENST_IJLi3ELi4EEEElEELi128ELi128ELi16ELi2ELi4ELi4ELi1ENST_IJLi8ELi2EEEES1W_NST_IJLi8ELi1ELi1ELi2EEEENST_IJLi2ELi1ELi128ELi1EEEENST_IJLi1ELi2ELi0ELi3EEEES1Z_NST_IJLi4ELi1ELi1ELi2EEEES1Z_NST_IJLi1ELi1ELi1ELi2EEEES1X_S1Y_S1Z_S1Z_S20_S1Z_S21_NST_IJLi0ELi1ELi2ELi3ELi4ELi5EEEELi5ELi4EEEDF16_NS5_IJPKDF16_EEEDF16_S8_S8_S9_NSB_INS5_IJSE_SG_SI_SI_SG_SG_SK_SK_SG_SN_SN_SP_SP_SR_SG_SG_NSQ_INS5_IJiNS_17integral_constantIiLi128EEEEEELb0EEENSF_INS27_IiLi2EEEEEEEENS5_IJSU_SV_SW_SX_SY_SZ_S10_S11_S12_S13_S14_S15_S16_S17_S18_NST_IJLi19EEEES1G_NST_IJLi20EEEEEEENS5_IJS1A_SZ_S10_S11_S12_S1B_S1C_S1D_S1E_S15_S16_S18_S17_S1F_S1G_NST_IJLi22EEEENST_IJLi23ELi24EEEENST_IJLi25EEEEEEENST_IJLi22ELi23ELi24ELi25EEEElEENSB_INS5_IJSR_SP_SP_SR_SG_SG_S2A_S2C_EEENS5_IJSU_SV_SW_SY_SX_SZ_S11_S10_EEENS5_IJS1M_SX_SY_S1N_S11_S12_NST_IJLi9ELi10EEEENST_IJLi11EEEEEEENST_IJLi8ELi9ELi10ELi11EEEElEENS5_IJNSB_INS5_IJSK_SP_SP_NSQ_INS5_IJiS2B_NS27_IiLi64EEEEEELb0EEES2W_EEENS5_IJSU_SV_SW_SX_SY_EEENS5_IJS1M_SX_SY_NST_IJLi5ELi6ELi7EEEENST_IJLi8ELi9ELi10EEEEEEENST_IJLi5ELi6ELi7ELi8ELi9ELi10EEEElEEEEES33_NS_31BlockToCTileMap_M00_N00_M01_N01ILi128ELi128ES1V_Lb0EEENS1_30ComputePtrOffsetOfStridedBatchILi1ELi1ELi1EvEELb1ELb1EEEvPKT0_S3B_T1_PT2_T3_T4_T5_iT6_T7_T8_T9_T10_T11_,comdat
.Lfunc_end5:
	.size	_ZN2ck16tensor_operation6device12_GLOBAL__N_137kernel_grouped_conv_fwd_dl_multiple_dINS_32GridwiseGemmDlMultipleD_km_kn_mnILi256EDF16_fNS_5TupleIJDF16_EEEDF16_NS0_12element_wise11PassThroughES8_NS7_7AddReluELNS_25InMemoryDataOperationEnumE0ENS_16TensorDescriptorINS5_IJNS_5EmbedINS5_IJiiiiEEESD_Lb0EEENS_11PassThroughIiEENS_3PadIiiiLb0EEESI_SG_SG_NSC_INS5_IJiiEEESJ_Lb0EEESK_SG_NS_23Merge_v2_magic_divisionINS5_IJiiiEEEEESN_NS_8RightPadIiiLb0EEESP_NS_7UnMergeISJ_Lb0EEESG_EEENS5_IJNS_8SequenceIJLi0EEEENST_IJLi1EEEENST_IJLi2EEEENST_IJLi3EEEENST_IJLi4EEEENST_IJLi5EEEENST_IJLi6EEEENST_IJLi7EEEENST_IJLi8EEEENST_IJLi9ELi11ELi13EEEENST_IJLi10ELi12ELi14EEEENST_IJLi15EEEENST_IJLi16EEEENST_IJLi18EEEENST_IJLi17EEEEEEENS5_IJNST_IJLi1ELi2ELi3ELi4EEEESZ_S10_S11_S12_NST_IJLi9EEEENST_IJLi10ELi11EEEENST_IJLi12ELi13EEEENST_IJLi14EEEES15_S16_S18_S17_NST_IJLi19ELi20EEEENST_IJLi21EEEEEEENST_IJLi19ELi21ELi20EEEElEENSB_INS5_IJSR_SP_SP_SR_SG_EEENS5_IJSU_SV_SW_SY_SX_EEENS5_IJNST_IJLi1ELi2EEEESX_SY_NST_IJLi5ELi6EEEES11_EEENST_IJLi5ELi7ELi6EEEElEENSB_INS5_IJSK_SP_SP_EEENS5_IJSU_SV_SW_EEENS5_IJS1M_SX_SY_EEENST_IJLi3ELi4EEEElEELi128ELi128ELi16ELi2ELi4ELi4ELi1ENST_IJLi8ELi2EEEES1W_NST_IJLi8ELi1ELi1ELi2EEEENST_IJLi2ELi1ELi128ELi1EEEENST_IJLi1ELi2ELi0ELi3EEEES1Z_NST_IJLi4ELi1ELi1ELi2EEEES1Z_NST_IJLi1ELi1ELi1ELi2EEEES1X_S1Y_S1Z_S1Z_S20_S1Z_S21_NST_IJLi0ELi1ELi2ELi3ELi4ELi5EEEELi5ELi4EEEDF16_NS5_IJPKDF16_EEEDF16_S8_S8_S9_NSB_INS5_IJSE_SG_SI_SI_SG_SG_SK_SK_SG_SN_SN_SP_SP_SR_SG_SG_NSQ_INS5_IJiNS_17integral_constantIiLi128EEEEEELb0EEENSF_INS27_IiLi2EEEEEEEENS5_IJSU_SV_SW_SX_SY_SZ_S10_S11_S12_S13_S14_S15_S16_S17_S18_NST_IJLi19EEEES1G_NST_IJLi20EEEEEEENS5_IJS1A_SZ_S10_S11_S12_S1B_S1C_S1D_S1E_S15_S16_S18_S17_S1F_S1G_NST_IJLi22EEEENST_IJLi23ELi24EEEENST_IJLi25EEEEEEENST_IJLi22ELi23ELi24ELi25EEEElEENSB_INS5_IJSR_SP_SP_SR_SG_SG_S2A_S2C_EEENS5_IJSU_SV_SW_SY_SX_SZ_S11_S10_EEENS5_IJS1M_SX_SY_S1N_S11_S12_NST_IJLi9ELi10EEEENST_IJLi11EEEEEEENST_IJLi8ELi9ELi10ELi11EEEElEENS5_IJNSB_INS5_IJSK_SP_SP_NSQ_INS5_IJiS2B_NS27_IiLi64EEEEEELb0EEES2W_EEENS5_IJSU_SV_SW_SX_SY_EEENS5_IJS1M_SX_SY_NST_IJLi5ELi6ELi7EEEENST_IJLi8ELi9ELi10EEEEEEENST_IJLi5ELi6ELi7ELi8ELi9ELi10EEEElEEEEES33_NS_31BlockToCTileMap_M00_N00_M01_N01ILi128ELi128ES1V_Lb0EEENS1_30ComputePtrOffsetOfStridedBatchILi1ELi1ELi1EvEELb1ELb1EEEvPKT0_S3B_T1_PT2_T3_T4_T5_iT6_T7_T8_T9_T10_T11_, .Lfunc_end5-_ZN2ck16tensor_operation6device12_GLOBAL__N_137kernel_grouped_conv_fwd_dl_multiple_dINS_32GridwiseGemmDlMultipleD_km_kn_mnILi256EDF16_fNS_5TupleIJDF16_EEEDF16_NS0_12element_wise11PassThroughES8_NS7_7AddReluELNS_25InMemoryDataOperationEnumE0ENS_16TensorDescriptorINS5_IJNS_5EmbedINS5_IJiiiiEEESD_Lb0EEENS_11PassThroughIiEENS_3PadIiiiLb0EEESI_SG_SG_NSC_INS5_IJiiEEESJ_Lb0EEESK_SG_NS_23Merge_v2_magic_divisionINS5_IJiiiEEEEESN_NS_8RightPadIiiLb0EEESP_NS_7UnMergeISJ_Lb0EEESG_EEENS5_IJNS_8SequenceIJLi0EEEENST_IJLi1EEEENST_IJLi2EEEENST_IJLi3EEEENST_IJLi4EEEENST_IJLi5EEEENST_IJLi6EEEENST_IJLi7EEEENST_IJLi8EEEENST_IJLi9ELi11ELi13EEEENST_IJLi10ELi12ELi14EEEENST_IJLi15EEEENST_IJLi16EEEENST_IJLi18EEEENST_IJLi17EEEEEEENS5_IJNST_IJLi1ELi2ELi3ELi4EEEESZ_S10_S11_S12_NST_IJLi9EEEENST_IJLi10ELi11EEEENST_IJLi12ELi13EEEENST_IJLi14EEEES15_S16_S18_S17_NST_IJLi19ELi20EEEENST_IJLi21EEEEEEENST_IJLi19ELi21ELi20EEEElEENSB_INS5_IJSR_SP_SP_SR_SG_EEENS5_IJSU_SV_SW_SY_SX_EEENS5_IJNST_IJLi1ELi2EEEESX_SY_NST_IJLi5ELi6EEEES11_EEENST_IJLi5ELi7ELi6EEEElEENSB_INS5_IJSK_SP_SP_EEENS5_IJSU_SV_SW_EEENS5_IJS1M_SX_SY_EEENST_IJLi3ELi4EEEElEELi128ELi128ELi16ELi2ELi4ELi4ELi1ENST_IJLi8ELi2EEEES1W_NST_IJLi8ELi1ELi1ELi2EEEENST_IJLi2ELi1ELi128ELi1EEEENST_IJLi1ELi2ELi0ELi3EEEES1Z_NST_IJLi4ELi1ELi1ELi2EEEES1Z_NST_IJLi1ELi1ELi1ELi2EEEES1X_S1Y_S1Z_S1Z_S20_S1Z_S21_NST_IJLi0ELi1ELi2ELi3ELi4ELi5EEEELi5ELi4EEEDF16_NS5_IJPKDF16_EEEDF16_S8_S8_S9_NSB_INS5_IJSE_SG_SI_SI_SG_SG_SK_SK_SG_SN_SN_SP_SP_SR_SG_SG_NSQ_INS5_IJiNS_17integral_constantIiLi128EEEEEELb0EEENSF_INS27_IiLi2EEEEEEEENS5_IJSU_SV_SW_SX_SY_SZ_S10_S11_S12_S13_S14_S15_S16_S17_S18_NST_IJLi19EEEES1G_NST_IJLi20EEEEEEENS5_IJS1A_SZ_S10_S11_S12_S1B_S1C_S1D_S1E_S15_S16_S18_S17_S1F_S1G_NST_IJLi22EEEENST_IJLi23ELi24EEEENST_IJLi25EEEEEEENST_IJLi22ELi23ELi24ELi25EEEElEENSB_INS5_IJSR_SP_SP_SR_SG_SG_S2A_S2C_EEENS5_IJSU_SV_SW_SY_SX_SZ_S11_S10_EEENS5_IJS1M_SX_SY_S1N_S11_S12_NST_IJLi9ELi10EEEENST_IJLi11EEEEEEENST_IJLi8ELi9ELi10ELi11EEEElEENS5_IJNSB_INS5_IJSK_SP_SP_NSQ_INS5_IJiS2B_NS27_IiLi64EEEEEELb0EEES2W_EEENS5_IJSU_SV_SW_SX_SY_EEENS5_IJS1M_SX_SY_NST_IJLi5ELi6ELi7EEEENST_IJLi8ELi9ELi10EEEEEEENST_IJLi5ELi6ELi7ELi8ELi9ELi10EEEElEEEEES33_NS_31BlockToCTileMap_M00_N00_M01_N01ILi128ELi128ES1V_Lb0EEENS1_30ComputePtrOffsetOfStridedBatchILi1ELi1ELi1EvEELb1ELb1EEEvPKT0_S3B_T1_PT2_T3_T4_T5_iT6_T7_T8_T9_T10_T11_
                                        ; -- End function
	.set _ZN2ck16tensor_operation6device12_GLOBAL__N_137kernel_grouped_conv_fwd_dl_multiple_dINS_32GridwiseGemmDlMultipleD_km_kn_mnILi256EDF16_fNS_5TupleIJDF16_EEEDF16_NS0_12element_wise11PassThroughES8_NS7_7AddReluELNS_25InMemoryDataOperationEnumE0ENS_16TensorDescriptorINS5_IJNS_5EmbedINS5_IJiiiiEEESD_Lb0EEENS_11PassThroughIiEENS_3PadIiiiLb0EEESI_SG_SG_NSC_INS5_IJiiEEESJ_Lb0EEESK_SG_NS_23Merge_v2_magic_divisionINS5_IJiiiEEEEESN_NS_8RightPadIiiLb0EEESP_NS_7UnMergeISJ_Lb0EEESG_EEENS5_IJNS_8SequenceIJLi0EEEENST_IJLi1EEEENST_IJLi2EEEENST_IJLi3EEEENST_IJLi4EEEENST_IJLi5EEEENST_IJLi6EEEENST_IJLi7EEEENST_IJLi8EEEENST_IJLi9ELi11ELi13EEEENST_IJLi10ELi12ELi14EEEENST_IJLi15EEEENST_IJLi16EEEENST_IJLi18EEEENST_IJLi17EEEEEEENS5_IJNST_IJLi1ELi2ELi3ELi4EEEESZ_S10_S11_S12_NST_IJLi9EEEENST_IJLi10ELi11EEEENST_IJLi12ELi13EEEENST_IJLi14EEEES15_S16_S18_S17_NST_IJLi19ELi20EEEENST_IJLi21EEEEEEENST_IJLi19ELi21ELi20EEEElEENSB_INS5_IJSR_SP_SP_SR_SG_EEENS5_IJSU_SV_SW_SY_SX_EEENS5_IJNST_IJLi1ELi2EEEESX_SY_NST_IJLi5ELi6EEEES11_EEENST_IJLi5ELi7ELi6EEEElEENSB_INS5_IJSK_SP_SP_EEENS5_IJSU_SV_SW_EEENS5_IJS1M_SX_SY_EEENST_IJLi3ELi4EEEElEELi128ELi128ELi16ELi2ELi4ELi4ELi1ENST_IJLi8ELi2EEEES1W_NST_IJLi8ELi1ELi1ELi2EEEENST_IJLi2ELi1ELi128ELi1EEEENST_IJLi1ELi2ELi0ELi3EEEES1Z_NST_IJLi4ELi1ELi1ELi2EEEES1Z_NST_IJLi1ELi1ELi1ELi2EEEES1X_S1Y_S1Z_S1Z_S20_S1Z_S21_NST_IJLi0ELi1ELi2ELi3ELi4ELi5EEEELi5ELi4EEEDF16_NS5_IJPKDF16_EEEDF16_S8_S8_S9_NSB_INS5_IJSE_SG_SI_SI_SG_SG_SK_SK_SG_SN_SN_SP_SP_SR_SG_SG_NSQ_INS5_IJiNS_17integral_constantIiLi128EEEEEELb0EEENSF_INS27_IiLi2EEEEEEEENS5_IJSU_SV_SW_SX_SY_SZ_S10_S11_S12_S13_S14_S15_S16_S17_S18_NST_IJLi19EEEES1G_NST_IJLi20EEEEEEENS5_IJS1A_SZ_S10_S11_S12_S1B_S1C_S1D_S1E_S15_S16_S18_S17_S1F_S1G_NST_IJLi22EEEENST_IJLi23ELi24EEEENST_IJLi25EEEEEEENST_IJLi22ELi23ELi24ELi25EEEElEENSB_INS5_IJSR_SP_SP_SR_SG_SG_S2A_S2C_EEENS5_IJSU_SV_SW_SY_SX_SZ_S11_S10_EEENS5_IJS1M_SX_SY_S1N_S11_S12_NST_IJLi9ELi10EEEENST_IJLi11EEEEEEENST_IJLi8ELi9ELi10ELi11EEEElEENS5_IJNSB_INS5_IJSK_SP_SP_NSQ_INS5_IJiS2B_NS27_IiLi64EEEEEELb0EEES2W_EEENS5_IJSU_SV_SW_SX_SY_EEENS5_IJS1M_SX_SY_NST_IJLi5ELi6ELi7EEEENST_IJLi8ELi9ELi10EEEEEEENST_IJLi5ELi6ELi7ELi8ELi9ELi10EEEElEEEEES33_NS_31BlockToCTileMap_M00_N00_M01_N01ILi128ELi128ES1V_Lb0EEENS1_30ComputePtrOffsetOfStridedBatchILi1ELi1ELi1EvEELb1ELb1EEEvPKT0_S3B_T1_PT2_T3_T4_T5_iT6_T7_T8_T9_T10_T11_.num_vgpr, 136
	.set _ZN2ck16tensor_operation6device12_GLOBAL__N_137kernel_grouped_conv_fwd_dl_multiple_dINS_32GridwiseGemmDlMultipleD_km_kn_mnILi256EDF16_fNS_5TupleIJDF16_EEEDF16_NS0_12element_wise11PassThroughES8_NS7_7AddReluELNS_25InMemoryDataOperationEnumE0ENS_16TensorDescriptorINS5_IJNS_5EmbedINS5_IJiiiiEEESD_Lb0EEENS_11PassThroughIiEENS_3PadIiiiLb0EEESI_SG_SG_NSC_INS5_IJiiEEESJ_Lb0EEESK_SG_NS_23Merge_v2_magic_divisionINS5_IJiiiEEEEESN_NS_8RightPadIiiLb0EEESP_NS_7UnMergeISJ_Lb0EEESG_EEENS5_IJNS_8SequenceIJLi0EEEENST_IJLi1EEEENST_IJLi2EEEENST_IJLi3EEEENST_IJLi4EEEENST_IJLi5EEEENST_IJLi6EEEENST_IJLi7EEEENST_IJLi8EEEENST_IJLi9ELi11ELi13EEEENST_IJLi10ELi12ELi14EEEENST_IJLi15EEEENST_IJLi16EEEENST_IJLi18EEEENST_IJLi17EEEEEEENS5_IJNST_IJLi1ELi2ELi3ELi4EEEESZ_S10_S11_S12_NST_IJLi9EEEENST_IJLi10ELi11EEEENST_IJLi12ELi13EEEENST_IJLi14EEEES15_S16_S18_S17_NST_IJLi19ELi20EEEENST_IJLi21EEEEEEENST_IJLi19ELi21ELi20EEEElEENSB_INS5_IJSR_SP_SP_SR_SG_EEENS5_IJSU_SV_SW_SY_SX_EEENS5_IJNST_IJLi1ELi2EEEESX_SY_NST_IJLi5ELi6EEEES11_EEENST_IJLi5ELi7ELi6EEEElEENSB_INS5_IJSK_SP_SP_EEENS5_IJSU_SV_SW_EEENS5_IJS1M_SX_SY_EEENST_IJLi3ELi4EEEElEELi128ELi128ELi16ELi2ELi4ELi4ELi1ENST_IJLi8ELi2EEEES1W_NST_IJLi8ELi1ELi1ELi2EEEENST_IJLi2ELi1ELi128ELi1EEEENST_IJLi1ELi2ELi0ELi3EEEES1Z_NST_IJLi4ELi1ELi1ELi2EEEES1Z_NST_IJLi1ELi1ELi1ELi2EEEES1X_S1Y_S1Z_S1Z_S20_S1Z_S21_NST_IJLi0ELi1ELi2ELi3ELi4ELi5EEEELi5ELi4EEEDF16_NS5_IJPKDF16_EEEDF16_S8_S8_S9_NSB_INS5_IJSE_SG_SI_SI_SG_SG_SK_SK_SG_SN_SN_SP_SP_SR_SG_SG_NSQ_INS5_IJiNS_17integral_constantIiLi128EEEEEELb0EEENSF_INS27_IiLi2EEEEEEEENS5_IJSU_SV_SW_SX_SY_SZ_S10_S11_S12_S13_S14_S15_S16_S17_S18_NST_IJLi19EEEES1G_NST_IJLi20EEEEEEENS5_IJS1A_SZ_S10_S11_S12_S1B_S1C_S1D_S1E_S15_S16_S18_S17_S1F_S1G_NST_IJLi22EEEENST_IJLi23ELi24EEEENST_IJLi25EEEEEEENST_IJLi22ELi23ELi24ELi25EEEElEENSB_INS5_IJSR_SP_SP_SR_SG_SG_S2A_S2C_EEENS5_IJSU_SV_SW_SY_SX_SZ_S11_S10_EEENS5_IJS1M_SX_SY_S1N_S11_S12_NST_IJLi9ELi10EEEENST_IJLi11EEEEEEENST_IJLi8ELi9ELi10ELi11EEEElEENS5_IJNSB_INS5_IJSK_SP_SP_NSQ_INS5_IJiS2B_NS27_IiLi64EEEEEELb0EEES2W_EEENS5_IJSU_SV_SW_SX_SY_EEENS5_IJS1M_SX_SY_NST_IJLi5ELi6ELi7EEEENST_IJLi8ELi9ELi10EEEEEEENST_IJLi5ELi6ELi7ELi8ELi9ELi10EEEElEEEEES33_NS_31BlockToCTileMap_M00_N00_M01_N01ILi128ELi128ES1V_Lb0EEENS1_30ComputePtrOffsetOfStridedBatchILi1ELi1ELi1EvEELb1ELb1EEEvPKT0_S3B_T1_PT2_T3_T4_T5_iT6_T7_T8_T9_T10_T11_.num_agpr, 0
	.set _ZN2ck16tensor_operation6device12_GLOBAL__N_137kernel_grouped_conv_fwd_dl_multiple_dINS_32GridwiseGemmDlMultipleD_km_kn_mnILi256EDF16_fNS_5TupleIJDF16_EEEDF16_NS0_12element_wise11PassThroughES8_NS7_7AddReluELNS_25InMemoryDataOperationEnumE0ENS_16TensorDescriptorINS5_IJNS_5EmbedINS5_IJiiiiEEESD_Lb0EEENS_11PassThroughIiEENS_3PadIiiiLb0EEESI_SG_SG_NSC_INS5_IJiiEEESJ_Lb0EEESK_SG_NS_23Merge_v2_magic_divisionINS5_IJiiiEEEEESN_NS_8RightPadIiiLb0EEESP_NS_7UnMergeISJ_Lb0EEESG_EEENS5_IJNS_8SequenceIJLi0EEEENST_IJLi1EEEENST_IJLi2EEEENST_IJLi3EEEENST_IJLi4EEEENST_IJLi5EEEENST_IJLi6EEEENST_IJLi7EEEENST_IJLi8EEEENST_IJLi9ELi11ELi13EEEENST_IJLi10ELi12ELi14EEEENST_IJLi15EEEENST_IJLi16EEEENST_IJLi18EEEENST_IJLi17EEEEEEENS5_IJNST_IJLi1ELi2ELi3ELi4EEEESZ_S10_S11_S12_NST_IJLi9EEEENST_IJLi10ELi11EEEENST_IJLi12ELi13EEEENST_IJLi14EEEES15_S16_S18_S17_NST_IJLi19ELi20EEEENST_IJLi21EEEEEEENST_IJLi19ELi21ELi20EEEElEENSB_INS5_IJSR_SP_SP_SR_SG_EEENS5_IJSU_SV_SW_SY_SX_EEENS5_IJNST_IJLi1ELi2EEEESX_SY_NST_IJLi5ELi6EEEES11_EEENST_IJLi5ELi7ELi6EEEElEENSB_INS5_IJSK_SP_SP_EEENS5_IJSU_SV_SW_EEENS5_IJS1M_SX_SY_EEENST_IJLi3ELi4EEEElEELi128ELi128ELi16ELi2ELi4ELi4ELi1ENST_IJLi8ELi2EEEES1W_NST_IJLi8ELi1ELi1ELi2EEEENST_IJLi2ELi1ELi128ELi1EEEENST_IJLi1ELi2ELi0ELi3EEEES1Z_NST_IJLi4ELi1ELi1ELi2EEEES1Z_NST_IJLi1ELi1ELi1ELi2EEEES1X_S1Y_S1Z_S1Z_S20_S1Z_S21_NST_IJLi0ELi1ELi2ELi3ELi4ELi5EEEELi5ELi4EEEDF16_NS5_IJPKDF16_EEEDF16_S8_S8_S9_NSB_INS5_IJSE_SG_SI_SI_SG_SG_SK_SK_SG_SN_SN_SP_SP_SR_SG_SG_NSQ_INS5_IJiNS_17integral_constantIiLi128EEEEEELb0EEENSF_INS27_IiLi2EEEEEEEENS5_IJSU_SV_SW_SX_SY_SZ_S10_S11_S12_S13_S14_S15_S16_S17_S18_NST_IJLi19EEEES1G_NST_IJLi20EEEEEEENS5_IJS1A_SZ_S10_S11_S12_S1B_S1C_S1D_S1E_S15_S16_S18_S17_S1F_S1G_NST_IJLi22EEEENST_IJLi23ELi24EEEENST_IJLi25EEEEEEENST_IJLi22ELi23ELi24ELi25EEEElEENSB_INS5_IJSR_SP_SP_SR_SG_SG_S2A_S2C_EEENS5_IJSU_SV_SW_SY_SX_SZ_S11_S10_EEENS5_IJS1M_SX_SY_S1N_S11_S12_NST_IJLi9ELi10EEEENST_IJLi11EEEEEEENST_IJLi8ELi9ELi10ELi11EEEElEENS5_IJNSB_INS5_IJSK_SP_SP_NSQ_INS5_IJiS2B_NS27_IiLi64EEEEEELb0EEES2W_EEENS5_IJSU_SV_SW_SX_SY_EEENS5_IJS1M_SX_SY_NST_IJLi5ELi6ELi7EEEENST_IJLi8ELi9ELi10EEEEEEENST_IJLi5ELi6ELi7ELi8ELi9ELi10EEEElEEEEES33_NS_31BlockToCTileMap_M00_N00_M01_N01ILi128ELi128ES1V_Lb0EEENS1_30ComputePtrOffsetOfStridedBatchILi1ELi1ELi1EvEELb1ELb1EEEvPKT0_S3B_T1_PT2_T3_T4_T5_iT6_T7_T8_T9_T10_T11_.numbered_sgpr, 74
	.set _ZN2ck16tensor_operation6device12_GLOBAL__N_137kernel_grouped_conv_fwd_dl_multiple_dINS_32GridwiseGemmDlMultipleD_km_kn_mnILi256EDF16_fNS_5TupleIJDF16_EEEDF16_NS0_12element_wise11PassThroughES8_NS7_7AddReluELNS_25InMemoryDataOperationEnumE0ENS_16TensorDescriptorINS5_IJNS_5EmbedINS5_IJiiiiEEESD_Lb0EEENS_11PassThroughIiEENS_3PadIiiiLb0EEESI_SG_SG_NSC_INS5_IJiiEEESJ_Lb0EEESK_SG_NS_23Merge_v2_magic_divisionINS5_IJiiiEEEEESN_NS_8RightPadIiiLb0EEESP_NS_7UnMergeISJ_Lb0EEESG_EEENS5_IJNS_8SequenceIJLi0EEEENST_IJLi1EEEENST_IJLi2EEEENST_IJLi3EEEENST_IJLi4EEEENST_IJLi5EEEENST_IJLi6EEEENST_IJLi7EEEENST_IJLi8EEEENST_IJLi9ELi11ELi13EEEENST_IJLi10ELi12ELi14EEEENST_IJLi15EEEENST_IJLi16EEEENST_IJLi18EEEENST_IJLi17EEEEEEENS5_IJNST_IJLi1ELi2ELi3ELi4EEEESZ_S10_S11_S12_NST_IJLi9EEEENST_IJLi10ELi11EEEENST_IJLi12ELi13EEEENST_IJLi14EEEES15_S16_S18_S17_NST_IJLi19ELi20EEEENST_IJLi21EEEEEEENST_IJLi19ELi21ELi20EEEElEENSB_INS5_IJSR_SP_SP_SR_SG_EEENS5_IJSU_SV_SW_SY_SX_EEENS5_IJNST_IJLi1ELi2EEEESX_SY_NST_IJLi5ELi6EEEES11_EEENST_IJLi5ELi7ELi6EEEElEENSB_INS5_IJSK_SP_SP_EEENS5_IJSU_SV_SW_EEENS5_IJS1M_SX_SY_EEENST_IJLi3ELi4EEEElEELi128ELi128ELi16ELi2ELi4ELi4ELi1ENST_IJLi8ELi2EEEES1W_NST_IJLi8ELi1ELi1ELi2EEEENST_IJLi2ELi1ELi128ELi1EEEENST_IJLi1ELi2ELi0ELi3EEEES1Z_NST_IJLi4ELi1ELi1ELi2EEEES1Z_NST_IJLi1ELi1ELi1ELi2EEEES1X_S1Y_S1Z_S1Z_S20_S1Z_S21_NST_IJLi0ELi1ELi2ELi3ELi4ELi5EEEELi5ELi4EEEDF16_NS5_IJPKDF16_EEEDF16_S8_S8_S9_NSB_INS5_IJSE_SG_SI_SI_SG_SG_SK_SK_SG_SN_SN_SP_SP_SR_SG_SG_NSQ_INS5_IJiNS_17integral_constantIiLi128EEEEEELb0EEENSF_INS27_IiLi2EEEEEEEENS5_IJSU_SV_SW_SX_SY_SZ_S10_S11_S12_S13_S14_S15_S16_S17_S18_NST_IJLi19EEEES1G_NST_IJLi20EEEEEEENS5_IJS1A_SZ_S10_S11_S12_S1B_S1C_S1D_S1E_S15_S16_S18_S17_S1F_S1G_NST_IJLi22EEEENST_IJLi23ELi24EEEENST_IJLi25EEEEEEENST_IJLi22ELi23ELi24ELi25EEEElEENSB_INS5_IJSR_SP_SP_SR_SG_SG_S2A_S2C_EEENS5_IJSU_SV_SW_SY_SX_SZ_S11_S10_EEENS5_IJS1M_SX_SY_S1N_S11_S12_NST_IJLi9ELi10EEEENST_IJLi11EEEEEEENST_IJLi8ELi9ELi10ELi11EEEElEENS5_IJNSB_INS5_IJSK_SP_SP_NSQ_INS5_IJiS2B_NS27_IiLi64EEEEEELb0EEES2W_EEENS5_IJSU_SV_SW_SX_SY_EEENS5_IJS1M_SX_SY_NST_IJLi5ELi6ELi7EEEENST_IJLi8ELi9ELi10EEEEEEENST_IJLi5ELi6ELi7ELi8ELi9ELi10EEEElEEEEES33_NS_31BlockToCTileMap_M00_N00_M01_N01ILi128ELi128ES1V_Lb0EEENS1_30ComputePtrOffsetOfStridedBatchILi1ELi1ELi1EvEELb1ELb1EEEvPKT0_S3B_T1_PT2_T3_T4_T5_iT6_T7_T8_T9_T10_T11_.num_named_barrier, 0
	.set _ZN2ck16tensor_operation6device12_GLOBAL__N_137kernel_grouped_conv_fwd_dl_multiple_dINS_32GridwiseGemmDlMultipleD_km_kn_mnILi256EDF16_fNS_5TupleIJDF16_EEEDF16_NS0_12element_wise11PassThroughES8_NS7_7AddReluELNS_25InMemoryDataOperationEnumE0ENS_16TensorDescriptorINS5_IJNS_5EmbedINS5_IJiiiiEEESD_Lb0EEENS_11PassThroughIiEENS_3PadIiiiLb0EEESI_SG_SG_NSC_INS5_IJiiEEESJ_Lb0EEESK_SG_NS_23Merge_v2_magic_divisionINS5_IJiiiEEEEESN_NS_8RightPadIiiLb0EEESP_NS_7UnMergeISJ_Lb0EEESG_EEENS5_IJNS_8SequenceIJLi0EEEENST_IJLi1EEEENST_IJLi2EEEENST_IJLi3EEEENST_IJLi4EEEENST_IJLi5EEEENST_IJLi6EEEENST_IJLi7EEEENST_IJLi8EEEENST_IJLi9ELi11ELi13EEEENST_IJLi10ELi12ELi14EEEENST_IJLi15EEEENST_IJLi16EEEENST_IJLi18EEEENST_IJLi17EEEEEEENS5_IJNST_IJLi1ELi2ELi3ELi4EEEESZ_S10_S11_S12_NST_IJLi9EEEENST_IJLi10ELi11EEEENST_IJLi12ELi13EEEENST_IJLi14EEEES15_S16_S18_S17_NST_IJLi19ELi20EEEENST_IJLi21EEEEEEENST_IJLi19ELi21ELi20EEEElEENSB_INS5_IJSR_SP_SP_SR_SG_EEENS5_IJSU_SV_SW_SY_SX_EEENS5_IJNST_IJLi1ELi2EEEESX_SY_NST_IJLi5ELi6EEEES11_EEENST_IJLi5ELi7ELi6EEEElEENSB_INS5_IJSK_SP_SP_EEENS5_IJSU_SV_SW_EEENS5_IJS1M_SX_SY_EEENST_IJLi3ELi4EEEElEELi128ELi128ELi16ELi2ELi4ELi4ELi1ENST_IJLi8ELi2EEEES1W_NST_IJLi8ELi1ELi1ELi2EEEENST_IJLi2ELi1ELi128ELi1EEEENST_IJLi1ELi2ELi0ELi3EEEES1Z_NST_IJLi4ELi1ELi1ELi2EEEES1Z_NST_IJLi1ELi1ELi1ELi2EEEES1X_S1Y_S1Z_S1Z_S20_S1Z_S21_NST_IJLi0ELi1ELi2ELi3ELi4ELi5EEEELi5ELi4EEEDF16_NS5_IJPKDF16_EEEDF16_S8_S8_S9_NSB_INS5_IJSE_SG_SI_SI_SG_SG_SK_SK_SG_SN_SN_SP_SP_SR_SG_SG_NSQ_INS5_IJiNS_17integral_constantIiLi128EEEEEELb0EEENSF_INS27_IiLi2EEEEEEEENS5_IJSU_SV_SW_SX_SY_SZ_S10_S11_S12_S13_S14_S15_S16_S17_S18_NST_IJLi19EEEES1G_NST_IJLi20EEEEEEENS5_IJS1A_SZ_S10_S11_S12_S1B_S1C_S1D_S1E_S15_S16_S18_S17_S1F_S1G_NST_IJLi22EEEENST_IJLi23ELi24EEEENST_IJLi25EEEEEEENST_IJLi22ELi23ELi24ELi25EEEElEENSB_INS5_IJSR_SP_SP_SR_SG_SG_S2A_S2C_EEENS5_IJSU_SV_SW_SY_SX_SZ_S11_S10_EEENS5_IJS1M_SX_SY_S1N_S11_S12_NST_IJLi9ELi10EEEENST_IJLi11EEEEEEENST_IJLi8ELi9ELi10ELi11EEEElEENS5_IJNSB_INS5_IJSK_SP_SP_NSQ_INS5_IJiS2B_NS27_IiLi64EEEEEELb0EEES2W_EEENS5_IJSU_SV_SW_SX_SY_EEENS5_IJS1M_SX_SY_NST_IJLi5ELi6ELi7EEEENST_IJLi8ELi9ELi10EEEEEEENST_IJLi5ELi6ELi7ELi8ELi9ELi10EEEElEEEEES33_NS_31BlockToCTileMap_M00_N00_M01_N01ILi128ELi128ES1V_Lb0EEENS1_30ComputePtrOffsetOfStridedBatchILi1ELi1ELi1EvEELb1ELb1EEEvPKT0_S3B_T1_PT2_T3_T4_T5_iT6_T7_T8_T9_T10_T11_.private_seg_size, 0
	.set _ZN2ck16tensor_operation6device12_GLOBAL__N_137kernel_grouped_conv_fwd_dl_multiple_dINS_32GridwiseGemmDlMultipleD_km_kn_mnILi256EDF16_fNS_5TupleIJDF16_EEEDF16_NS0_12element_wise11PassThroughES8_NS7_7AddReluELNS_25InMemoryDataOperationEnumE0ENS_16TensorDescriptorINS5_IJNS_5EmbedINS5_IJiiiiEEESD_Lb0EEENS_11PassThroughIiEENS_3PadIiiiLb0EEESI_SG_SG_NSC_INS5_IJiiEEESJ_Lb0EEESK_SG_NS_23Merge_v2_magic_divisionINS5_IJiiiEEEEESN_NS_8RightPadIiiLb0EEESP_NS_7UnMergeISJ_Lb0EEESG_EEENS5_IJNS_8SequenceIJLi0EEEENST_IJLi1EEEENST_IJLi2EEEENST_IJLi3EEEENST_IJLi4EEEENST_IJLi5EEEENST_IJLi6EEEENST_IJLi7EEEENST_IJLi8EEEENST_IJLi9ELi11ELi13EEEENST_IJLi10ELi12ELi14EEEENST_IJLi15EEEENST_IJLi16EEEENST_IJLi18EEEENST_IJLi17EEEEEEENS5_IJNST_IJLi1ELi2ELi3ELi4EEEESZ_S10_S11_S12_NST_IJLi9EEEENST_IJLi10ELi11EEEENST_IJLi12ELi13EEEENST_IJLi14EEEES15_S16_S18_S17_NST_IJLi19ELi20EEEENST_IJLi21EEEEEEENST_IJLi19ELi21ELi20EEEElEENSB_INS5_IJSR_SP_SP_SR_SG_EEENS5_IJSU_SV_SW_SY_SX_EEENS5_IJNST_IJLi1ELi2EEEESX_SY_NST_IJLi5ELi6EEEES11_EEENST_IJLi5ELi7ELi6EEEElEENSB_INS5_IJSK_SP_SP_EEENS5_IJSU_SV_SW_EEENS5_IJS1M_SX_SY_EEENST_IJLi3ELi4EEEElEELi128ELi128ELi16ELi2ELi4ELi4ELi1ENST_IJLi8ELi2EEEES1W_NST_IJLi8ELi1ELi1ELi2EEEENST_IJLi2ELi1ELi128ELi1EEEENST_IJLi1ELi2ELi0ELi3EEEES1Z_NST_IJLi4ELi1ELi1ELi2EEEES1Z_NST_IJLi1ELi1ELi1ELi2EEEES1X_S1Y_S1Z_S1Z_S20_S1Z_S21_NST_IJLi0ELi1ELi2ELi3ELi4ELi5EEEELi5ELi4EEEDF16_NS5_IJPKDF16_EEEDF16_S8_S8_S9_NSB_INS5_IJSE_SG_SI_SI_SG_SG_SK_SK_SG_SN_SN_SP_SP_SR_SG_SG_NSQ_INS5_IJiNS_17integral_constantIiLi128EEEEEELb0EEENSF_INS27_IiLi2EEEEEEEENS5_IJSU_SV_SW_SX_SY_SZ_S10_S11_S12_S13_S14_S15_S16_S17_S18_NST_IJLi19EEEES1G_NST_IJLi20EEEEEEENS5_IJS1A_SZ_S10_S11_S12_S1B_S1C_S1D_S1E_S15_S16_S18_S17_S1F_S1G_NST_IJLi22EEEENST_IJLi23ELi24EEEENST_IJLi25EEEEEEENST_IJLi22ELi23ELi24ELi25EEEElEENSB_INS5_IJSR_SP_SP_SR_SG_SG_S2A_S2C_EEENS5_IJSU_SV_SW_SY_SX_SZ_S11_S10_EEENS5_IJS1M_SX_SY_S1N_S11_S12_NST_IJLi9ELi10EEEENST_IJLi11EEEEEEENST_IJLi8ELi9ELi10ELi11EEEElEENS5_IJNSB_INS5_IJSK_SP_SP_NSQ_INS5_IJiS2B_NS27_IiLi64EEEEEELb0EEES2W_EEENS5_IJSU_SV_SW_SX_SY_EEENS5_IJS1M_SX_SY_NST_IJLi5ELi6ELi7EEEENST_IJLi8ELi9ELi10EEEEEEENST_IJLi5ELi6ELi7ELi8ELi9ELi10EEEElEEEEES33_NS_31BlockToCTileMap_M00_N00_M01_N01ILi128ELi128ES1V_Lb0EEENS1_30ComputePtrOffsetOfStridedBatchILi1ELi1ELi1EvEELb1ELb1EEEvPKT0_S3B_T1_PT2_T3_T4_T5_iT6_T7_T8_T9_T10_T11_.uses_vcc, 1
	.set _ZN2ck16tensor_operation6device12_GLOBAL__N_137kernel_grouped_conv_fwd_dl_multiple_dINS_32GridwiseGemmDlMultipleD_km_kn_mnILi256EDF16_fNS_5TupleIJDF16_EEEDF16_NS0_12element_wise11PassThroughES8_NS7_7AddReluELNS_25InMemoryDataOperationEnumE0ENS_16TensorDescriptorINS5_IJNS_5EmbedINS5_IJiiiiEEESD_Lb0EEENS_11PassThroughIiEENS_3PadIiiiLb0EEESI_SG_SG_NSC_INS5_IJiiEEESJ_Lb0EEESK_SG_NS_23Merge_v2_magic_divisionINS5_IJiiiEEEEESN_NS_8RightPadIiiLb0EEESP_NS_7UnMergeISJ_Lb0EEESG_EEENS5_IJNS_8SequenceIJLi0EEEENST_IJLi1EEEENST_IJLi2EEEENST_IJLi3EEEENST_IJLi4EEEENST_IJLi5EEEENST_IJLi6EEEENST_IJLi7EEEENST_IJLi8EEEENST_IJLi9ELi11ELi13EEEENST_IJLi10ELi12ELi14EEEENST_IJLi15EEEENST_IJLi16EEEENST_IJLi18EEEENST_IJLi17EEEEEEENS5_IJNST_IJLi1ELi2ELi3ELi4EEEESZ_S10_S11_S12_NST_IJLi9EEEENST_IJLi10ELi11EEEENST_IJLi12ELi13EEEENST_IJLi14EEEES15_S16_S18_S17_NST_IJLi19ELi20EEEENST_IJLi21EEEEEEENST_IJLi19ELi21ELi20EEEElEENSB_INS5_IJSR_SP_SP_SR_SG_EEENS5_IJSU_SV_SW_SY_SX_EEENS5_IJNST_IJLi1ELi2EEEESX_SY_NST_IJLi5ELi6EEEES11_EEENST_IJLi5ELi7ELi6EEEElEENSB_INS5_IJSK_SP_SP_EEENS5_IJSU_SV_SW_EEENS5_IJS1M_SX_SY_EEENST_IJLi3ELi4EEEElEELi128ELi128ELi16ELi2ELi4ELi4ELi1ENST_IJLi8ELi2EEEES1W_NST_IJLi8ELi1ELi1ELi2EEEENST_IJLi2ELi1ELi128ELi1EEEENST_IJLi1ELi2ELi0ELi3EEEES1Z_NST_IJLi4ELi1ELi1ELi2EEEES1Z_NST_IJLi1ELi1ELi1ELi2EEEES1X_S1Y_S1Z_S1Z_S20_S1Z_S21_NST_IJLi0ELi1ELi2ELi3ELi4ELi5EEEELi5ELi4EEEDF16_NS5_IJPKDF16_EEEDF16_S8_S8_S9_NSB_INS5_IJSE_SG_SI_SI_SG_SG_SK_SK_SG_SN_SN_SP_SP_SR_SG_SG_NSQ_INS5_IJiNS_17integral_constantIiLi128EEEEEELb0EEENSF_INS27_IiLi2EEEEEEEENS5_IJSU_SV_SW_SX_SY_SZ_S10_S11_S12_S13_S14_S15_S16_S17_S18_NST_IJLi19EEEES1G_NST_IJLi20EEEEEEENS5_IJS1A_SZ_S10_S11_S12_S1B_S1C_S1D_S1E_S15_S16_S18_S17_S1F_S1G_NST_IJLi22EEEENST_IJLi23ELi24EEEENST_IJLi25EEEEEEENST_IJLi22ELi23ELi24ELi25EEEElEENSB_INS5_IJSR_SP_SP_SR_SG_SG_S2A_S2C_EEENS5_IJSU_SV_SW_SY_SX_SZ_S11_S10_EEENS5_IJS1M_SX_SY_S1N_S11_S12_NST_IJLi9ELi10EEEENST_IJLi11EEEEEEENST_IJLi8ELi9ELi10ELi11EEEElEENS5_IJNSB_INS5_IJSK_SP_SP_NSQ_INS5_IJiS2B_NS27_IiLi64EEEEEELb0EEES2W_EEENS5_IJSU_SV_SW_SX_SY_EEENS5_IJS1M_SX_SY_NST_IJLi5ELi6ELi7EEEENST_IJLi8ELi9ELi10EEEEEEENST_IJLi5ELi6ELi7ELi8ELi9ELi10EEEElEEEEES33_NS_31BlockToCTileMap_M00_N00_M01_N01ILi128ELi128ES1V_Lb0EEENS1_30ComputePtrOffsetOfStridedBatchILi1ELi1ELi1EvEELb1ELb1EEEvPKT0_S3B_T1_PT2_T3_T4_T5_iT6_T7_T8_T9_T10_T11_.uses_flat_scratch, 0
	.set _ZN2ck16tensor_operation6device12_GLOBAL__N_137kernel_grouped_conv_fwd_dl_multiple_dINS_32GridwiseGemmDlMultipleD_km_kn_mnILi256EDF16_fNS_5TupleIJDF16_EEEDF16_NS0_12element_wise11PassThroughES8_NS7_7AddReluELNS_25InMemoryDataOperationEnumE0ENS_16TensorDescriptorINS5_IJNS_5EmbedINS5_IJiiiiEEESD_Lb0EEENS_11PassThroughIiEENS_3PadIiiiLb0EEESI_SG_SG_NSC_INS5_IJiiEEESJ_Lb0EEESK_SG_NS_23Merge_v2_magic_divisionINS5_IJiiiEEEEESN_NS_8RightPadIiiLb0EEESP_NS_7UnMergeISJ_Lb0EEESG_EEENS5_IJNS_8SequenceIJLi0EEEENST_IJLi1EEEENST_IJLi2EEEENST_IJLi3EEEENST_IJLi4EEEENST_IJLi5EEEENST_IJLi6EEEENST_IJLi7EEEENST_IJLi8EEEENST_IJLi9ELi11ELi13EEEENST_IJLi10ELi12ELi14EEEENST_IJLi15EEEENST_IJLi16EEEENST_IJLi18EEEENST_IJLi17EEEEEEENS5_IJNST_IJLi1ELi2ELi3ELi4EEEESZ_S10_S11_S12_NST_IJLi9EEEENST_IJLi10ELi11EEEENST_IJLi12ELi13EEEENST_IJLi14EEEES15_S16_S18_S17_NST_IJLi19ELi20EEEENST_IJLi21EEEEEEENST_IJLi19ELi21ELi20EEEElEENSB_INS5_IJSR_SP_SP_SR_SG_EEENS5_IJSU_SV_SW_SY_SX_EEENS5_IJNST_IJLi1ELi2EEEESX_SY_NST_IJLi5ELi6EEEES11_EEENST_IJLi5ELi7ELi6EEEElEENSB_INS5_IJSK_SP_SP_EEENS5_IJSU_SV_SW_EEENS5_IJS1M_SX_SY_EEENST_IJLi3ELi4EEEElEELi128ELi128ELi16ELi2ELi4ELi4ELi1ENST_IJLi8ELi2EEEES1W_NST_IJLi8ELi1ELi1ELi2EEEENST_IJLi2ELi1ELi128ELi1EEEENST_IJLi1ELi2ELi0ELi3EEEES1Z_NST_IJLi4ELi1ELi1ELi2EEEES1Z_NST_IJLi1ELi1ELi1ELi2EEEES1X_S1Y_S1Z_S1Z_S20_S1Z_S21_NST_IJLi0ELi1ELi2ELi3ELi4ELi5EEEELi5ELi4EEEDF16_NS5_IJPKDF16_EEEDF16_S8_S8_S9_NSB_INS5_IJSE_SG_SI_SI_SG_SG_SK_SK_SG_SN_SN_SP_SP_SR_SG_SG_NSQ_INS5_IJiNS_17integral_constantIiLi128EEEEEELb0EEENSF_INS27_IiLi2EEEEEEEENS5_IJSU_SV_SW_SX_SY_SZ_S10_S11_S12_S13_S14_S15_S16_S17_S18_NST_IJLi19EEEES1G_NST_IJLi20EEEEEEENS5_IJS1A_SZ_S10_S11_S12_S1B_S1C_S1D_S1E_S15_S16_S18_S17_S1F_S1G_NST_IJLi22EEEENST_IJLi23ELi24EEEENST_IJLi25EEEEEEENST_IJLi22ELi23ELi24ELi25EEEElEENSB_INS5_IJSR_SP_SP_SR_SG_SG_S2A_S2C_EEENS5_IJSU_SV_SW_SY_SX_SZ_S11_S10_EEENS5_IJS1M_SX_SY_S1N_S11_S12_NST_IJLi9ELi10EEEENST_IJLi11EEEEEEENST_IJLi8ELi9ELi10ELi11EEEElEENS5_IJNSB_INS5_IJSK_SP_SP_NSQ_INS5_IJiS2B_NS27_IiLi64EEEEEELb0EEES2W_EEENS5_IJSU_SV_SW_SX_SY_EEENS5_IJS1M_SX_SY_NST_IJLi5ELi6ELi7EEEENST_IJLi8ELi9ELi10EEEEEEENST_IJLi5ELi6ELi7ELi8ELi9ELi10EEEElEEEEES33_NS_31BlockToCTileMap_M00_N00_M01_N01ILi128ELi128ES1V_Lb0EEENS1_30ComputePtrOffsetOfStridedBatchILi1ELi1ELi1EvEELb1ELb1EEEvPKT0_S3B_T1_PT2_T3_T4_T5_iT6_T7_T8_T9_T10_T11_.has_dyn_sized_stack, 0
	.set _ZN2ck16tensor_operation6device12_GLOBAL__N_137kernel_grouped_conv_fwd_dl_multiple_dINS_32GridwiseGemmDlMultipleD_km_kn_mnILi256EDF16_fNS_5TupleIJDF16_EEEDF16_NS0_12element_wise11PassThroughES8_NS7_7AddReluELNS_25InMemoryDataOperationEnumE0ENS_16TensorDescriptorINS5_IJNS_5EmbedINS5_IJiiiiEEESD_Lb0EEENS_11PassThroughIiEENS_3PadIiiiLb0EEESI_SG_SG_NSC_INS5_IJiiEEESJ_Lb0EEESK_SG_NS_23Merge_v2_magic_divisionINS5_IJiiiEEEEESN_NS_8RightPadIiiLb0EEESP_NS_7UnMergeISJ_Lb0EEESG_EEENS5_IJNS_8SequenceIJLi0EEEENST_IJLi1EEEENST_IJLi2EEEENST_IJLi3EEEENST_IJLi4EEEENST_IJLi5EEEENST_IJLi6EEEENST_IJLi7EEEENST_IJLi8EEEENST_IJLi9ELi11ELi13EEEENST_IJLi10ELi12ELi14EEEENST_IJLi15EEEENST_IJLi16EEEENST_IJLi18EEEENST_IJLi17EEEEEEENS5_IJNST_IJLi1ELi2ELi3ELi4EEEESZ_S10_S11_S12_NST_IJLi9EEEENST_IJLi10ELi11EEEENST_IJLi12ELi13EEEENST_IJLi14EEEES15_S16_S18_S17_NST_IJLi19ELi20EEEENST_IJLi21EEEEEEENST_IJLi19ELi21ELi20EEEElEENSB_INS5_IJSR_SP_SP_SR_SG_EEENS5_IJSU_SV_SW_SY_SX_EEENS5_IJNST_IJLi1ELi2EEEESX_SY_NST_IJLi5ELi6EEEES11_EEENST_IJLi5ELi7ELi6EEEElEENSB_INS5_IJSK_SP_SP_EEENS5_IJSU_SV_SW_EEENS5_IJS1M_SX_SY_EEENST_IJLi3ELi4EEEElEELi128ELi128ELi16ELi2ELi4ELi4ELi1ENST_IJLi8ELi2EEEES1W_NST_IJLi8ELi1ELi1ELi2EEEENST_IJLi2ELi1ELi128ELi1EEEENST_IJLi1ELi2ELi0ELi3EEEES1Z_NST_IJLi4ELi1ELi1ELi2EEEES1Z_NST_IJLi1ELi1ELi1ELi2EEEES1X_S1Y_S1Z_S1Z_S20_S1Z_S21_NST_IJLi0ELi1ELi2ELi3ELi4ELi5EEEELi5ELi4EEEDF16_NS5_IJPKDF16_EEEDF16_S8_S8_S9_NSB_INS5_IJSE_SG_SI_SI_SG_SG_SK_SK_SG_SN_SN_SP_SP_SR_SG_SG_NSQ_INS5_IJiNS_17integral_constantIiLi128EEEEEELb0EEENSF_INS27_IiLi2EEEEEEEENS5_IJSU_SV_SW_SX_SY_SZ_S10_S11_S12_S13_S14_S15_S16_S17_S18_NST_IJLi19EEEES1G_NST_IJLi20EEEEEEENS5_IJS1A_SZ_S10_S11_S12_S1B_S1C_S1D_S1E_S15_S16_S18_S17_S1F_S1G_NST_IJLi22EEEENST_IJLi23ELi24EEEENST_IJLi25EEEEEEENST_IJLi22ELi23ELi24ELi25EEEElEENSB_INS5_IJSR_SP_SP_SR_SG_SG_S2A_S2C_EEENS5_IJSU_SV_SW_SY_SX_SZ_S11_S10_EEENS5_IJS1M_SX_SY_S1N_S11_S12_NST_IJLi9ELi10EEEENST_IJLi11EEEEEEENST_IJLi8ELi9ELi10ELi11EEEElEENS5_IJNSB_INS5_IJSK_SP_SP_NSQ_INS5_IJiS2B_NS27_IiLi64EEEEEELb0EEES2W_EEENS5_IJSU_SV_SW_SX_SY_EEENS5_IJS1M_SX_SY_NST_IJLi5ELi6ELi7EEEENST_IJLi8ELi9ELi10EEEEEEENST_IJLi5ELi6ELi7ELi8ELi9ELi10EEEElEEEEES33_NS_31BlockToCTileMap_M00_N00_M01_N01ILi128ELi128ES1V_Lb0EEENS1_30ComputePtrOffsetOfStridedBatchILi1ELi1ELi1EvEELb1ELb1EEEvPKT0_S3B_T1_PT2_T3_T4_T5_iT6_T7_T8_T9_T10_T11_.has_recursion, 0
	.set _ZN2ck16tensor_operation6device12_GLOBAL__N_137kernel_grouped_conv_fwd_dl_multiple_dINS_32GridwiseGemmDlMultipleD_km_kn_mnILi256EDF16_fNS_5TupleIJDF16_EEEDF16_NS0_12element_wise11PassThroughES8_NS7_7AddReluELNS_25InMemoryDataOperationEnumE0ENS_16TensorDescriptorINS5_IJNS_5EmbedINS5_IJiiiiEEESD_Lb0EEENS_11PassThroughIiEENS_3PadIiiiLb0EEESI_SG_SG_NSC_INS5_IJiiEEESJ_Lb0EEESK_SG_NS_23Merge_v2_magic_divisionINS5_IJiiiEEEEESN_NS_8RightPadIiiLb0EEESP_NS_7UnMergeISJ_Lb0EEESG_EEENS5_IJNS_8SequenceIJLi0EEEENST_IJLi1EEEENST_IJLi2EEEENST_IJLi3EEEENST_IJLi4EEEENST_IJLi5EEEENST_IJLi6EEEENST_IJLi7EEEENST_IJLi8EEEENST_IJLi9ELi11ELi13EEEENST_IJLi10ELi12ELi14EEEENST_IJLi15EEEENST_IJLi16EEEENST_IJLi18EEEENST_IJLi17EEEEEEENS5_IJNST_IJLi1ELi2ELi3ELi4EEEESZ_S10_S11_S12_NST_IJLi9EEEENST_IJLi10ELi11EEEENST_IJLi12ELi13EEEENST_IJLi14EEEES15_S16_S18_S17_NST_IJLi19ELi20EEEENST_IJLi21EEEEEEENST_IJLi19ELi21ELi20EEEElEENSB_INS5_IJSR_SP_SP_SR_SG_EEENS5_IJSU_SV_SW_SY_SX_EEENS5_IJNST_IJLi1ELi2EEEESX_SY_NST_IJLi5ELi6EEEES11_EEENST_IJLi5ELi7ELi6EEEElEENSB_INS5_IJSK_SP_SP_EEENS5_IJSU_SV_SW_EEENS5_IJS1M_SX_SY_EEENST_IJLi3ELi4EEEElEELi128ELi128ELi16ELi2ELi4ELi4ELi1ENST_IJLi8ELi2EEEES1W_NST_IJLi8ELi1ELi1ELi2EEEENST_IJLi2ELi1ELi128ELi1EEEENST_IJLi1ELi2ELi0ELi3EEEES1Z_NST_IJLi4ELi1ELi1ELi2EEEES1Z_NST_IJLi1ELi1ELi1ELi2EEEES1X_S1Y_S1Z_S1Z_S20_S1Z_S21_NST_IJLi0ELi1ELi2ELi3ELi4ELi5EEEELi5ELi4EEEDF16_NS5_IJPKDF16_EEEDF16_S8_S8_S9_NSB_INS5_IJSE_SG_SI_SI_SG_SG_SK_SK_SG_SN_SN_SP_SP_SR_SG_SG_NSQ_INS5_IJiNS_17integral_constantIiLi128EEEEEELb0EEENSF_INS27_IiLi2EEEEEEEENS5_IJSU_SV_SW_SX_SY_SZ_S10_S11_S12_S13_S14_S15_S16_S17_S18_NST_IJLi19EEEES1G_NST_IJLi20EEEEEEENS5_IJS1A_SZ_S10_S11_S12_S1B_S1C_S1D_S1E_S15_S16_S18_S17_S1F_S1G_NST_IJLi22EEEENST_IJLi23ELi24EEEENST_IJLi25EEEEEEENST_IJLi22ELi23ELi24ELi25EEEElEENSB_INS5_IJSR_SP_SP_SR_SG_SG_S2A_S2C_EEENS5_IJSU_SV_SW_SY_SX_SZ_S11_S10_EEENS5_IJS1M_SX_SY_S1N_S11_S12_NST_IJLi9ELi10EEEENST_IJLi11EEEEEEENST_IJLi8ELi9ELi10ELi11EEEElEENS5_IJNSB_INS5_IJSK_SP_SP_NSQ_INS5_IJiS2B_NS27_IiLi64EEEEEELb0EEES2W_EEENS5_IJSU_SV_SW_SX_SY_EEENS5_IJS1M_SX_SY_NST_IJLi5ELi6ELi7EEEENST_IJLi8ELi9ELi10EEEEEEENST_IJLi5ELi6ELi7ELi8ELi9ELi10EEEElEEEEES33_NS_31BlockToCTileMap_M00_N00_M01_N01ILi128ELi128ES1V_Lb0EEENS1_30ComputePtrOffsetOfStridedBatchILi1ELi1ELi1EvEELb1ELb1EEEvPKT0_S3B_T1_PT2_T3_T4_T5_iT6_T7_T8_T9_T10_T11_.has_indirect_call, 0
	.section	.AMDGPU.csdata,"",@progbits
; Kernel info:
; codeLenInByte = 26000
; TotalNumSgprs: 80
; NumVgprs: 136
; NumAgprs: 0
; TotalNumVgprs: 136
; ScratchSize: 0
; MemoryBound: 0
; FloatMode: 240
; IeeeMode: 1
; LDSByteSize: 32768 bytes/workgroup (compile time only)
; SGPRBlocks: 12
; VGPRBlocks: 16
; NumSGPRsForWavesPerEU: 102
; NumVGPRsForWavesPerEU: 136
; AccumOffset: 136
; Occupancy: 3
; WaveLimiterHint : 1
; COMPUTE_PGM_RSRC2:SCRATCH_EN: 0
; COMPUTE_PGM_RSRC2:USER_SGPR: 2
; COMPUTE_PGM_RSRC2:TRAP_HANDLER: 0
; COMPUTE_PGM_RSRC2:TGID_X_EN: 1
; COMPUTE_PGM_RSRC2:TGID_Y_EN: 0
; COMPUTE_PGM_RSRC2:TGID_Z_EN: 0
; COMPUTE_PGM_RSRC2:TIDIG_COMP_CNT: 0
; COMPUTE_PGM_RSRC3_GFX90A:ACCUM_OFFSET: 33
; COMPUTE_PGM_RSRC3_GFX90A:TG_SPLIT: 0
	.section	.text._ZN2ck16tensor_operation6device12_GLOBAL__N_137kernel_grouped_conv_fwd_dl_multiple_dINS_32GridwiseGemmDlMultipleD_km_kn_mnILi256EDF16_fNS_5TupleIJDF16_EEEDF16_NS0_12element_wise11PassThroughES8_NS7_7AddReluELNS_25InMemoryDataOperationEnumE0ENS_16TensorDescriptorINS5_IJNS_5EmbedINS5_IJiiiiEEESD_Lb0EEENS_11PassThroughIiEENS_3PadIiiiLb0EEESI_SG_SG_NSC_INS5_IJiiEEESJ_Lb0EEESK_SG_NS_23Merge_v2_magic_divisionINS5_IJiiiEEEEESN_NS_8RightPadIiiLb0EEESP_NS_7UnMergeISJ_Lb0EEESG_EEENS5_IJNS_8SequenceIJLi0EEEENST_IJLi1EEEENST_IJLi2EEEENST_IJLi3EEEENST_IJLi4EEEENST_IJLi5EEEENST_IJLi6EEEENST_IJLi7EEEENST_IJLi8EEEENST_IJLi9ELi11ELi13EEEENST_IJLi10ELi12ELi14EEEENST_IJLi15EEEENST_IJLi16EEEENST_IJLi18EEEENST_IJLi17EEEEEEENS5_IJNST_IJLi1ELi2ELi3ELi4EEEESZ_S10_S11_S12_NST_IJLi9EEEENST_IJLi10ELi11EEEENST_IJLi12ELi13EEEENST_IJLi14EEEES15_S16_S18_S17_NST_IJLi19ELi20EEEENST_IJLi21EEEEEEENST_IJLi19ELi21ELi20EEEElEENSB_INS5_IJSR_SP_SP_SR_SG_EEENS5_IJSU_SV_SW_SY_SX_EEENS5_IJNST_IJLi1ELi2EEEESX_SY_NST_IJLi5ELi6EEEES11_EEENST_IJLi5ELi7ELi6EEEElEENSB_INS5_IJSK_SP_SP_EEENS5_IJSU_SV_SW_EEENS5_IJS1M_SX_SY_EEENST_IJLi3ELi4EEEElEELi128ELi128ELi16ELi2ELi4ELi4ELi1ENST_IJLi8ELi2EEEES1W_NST_IJLi8ELi1ELi1ELi2EEEENST_IJLi2ELi1ELi128ELi1EEEENST_IJLi1ELi2ELi0ELi3EEEES1Z_NST_IJLi4ELi1ELi1ELi2EEEES1Z_NST_IJLi1ELi1ELi1ELi2EEEES1X_S1Y_S1Z_S1Z_S20_S1Z_S21_NST_IJLi0ELi1ELi2ELi3ELi4ELi5EEEELi5ELi4EEEDF16_NS5_IJPKDF16_EEEDF16_S8_S8_S9_NSB_INS5_IJSE_SG_SI_SI_SG_SG_SK_SK_SG_SN_SN_SP_SP_SR_SG_SG_NSQ_INS5_IJiNS_17integral_constantIiLi128EEEEEELb0EEENSF_INS27_IiLi2EEEEEEEENS5_IJSU_SV_SW_SX_SY_SZ_S10_S11_S12_S13_S14_S15_S16_S17_S18_NST_IJLi19EEEES1G_NST_IJLi20EEEEEEENS5_IJS1A_SZ_S10_S11_S12_S1B_S1C_S1D_S1E_S15_S16_S18_S17_S1F_S1G_NST_IJLi22EEEENST_IJLi23ELi24EEEENST_IJLi25EEEEEEENST_IJLi22ELi23ELi24ELi25EEEElEENSB_INS5_IJSR_SP_SP_SR_SG_SG_S2A_S2C_EEENS5_IJSU_SV_SW_SY_SX_SZ_S11_S10_EEENS5_IJS1M_SX_SY_S1N_S11_S12_NST_IJLi9ELi10EEEENST_IJLi11EEEEEEENST_IJLi8ELi9ELi10ELi11EEEElEENS5_IJNSB_INS5_IJSK_SP_SP_NSQ_INS5_IJiS2B_NS27_IiLi64EEEEEELb0EEES2W_EEENS5_IJSU_SV_SW_SX_SY_EEENS5_IJS1M_SX_SY_NST_IJLi5ELi6ELi7EEEENST_IJLi8ELi9ELi10EEEEEEENST_IJLi5ELi6ELi7ELi8ELi9ELi10EEEElEEEEES33_NS_31BlockToCTileMap_M00_N00_M01_N01ILi128ELi128ES1V_Lb0EEENS1_30ComputePtrOffsetOfStridedBatchILi1ELi1ELi1EvEELb1ELb0EEEvPKT0_S3B_T1_PT2_T3_T4_T5_iT6_T7_T8_T9_T10_T11_,"axG",@progbits,_ZN2ck16tensor_operation6device12_GLOBAL__N_137kernel_grouped_conv_fwd_dl_multiple_dINS_32GridwiseGemmDlMultipleD_km_kn_mnILi256EDF16_fNS_5TupleIJDF16_EEEDF16_NS0_12element_wise11PassThroughES8_NS7_7AddReluELNS_25InMemoryDataOperationEnumE0ENS_16TensorDescriptorINS5_IJNS_5EmbedINS5_IJiiiiEEESD_Lb0EEENS_11PassThroughIiEENS_3PadIiiiLb0EEESI_SG_SG_NSC_INS5_IJiiEEESJ_Lb0EEESK_SG_NS_23Merge_v2_magic_divisionINS5_IJiiiEEEEESN_NS_8RightPadIiiLb0EEESP_NS_7UnMergeISJ_Lb0EEESG_EEENS5_IJNS_8SequenceIJLi0EEEENST_IJLi1EEEENST_IJLi2EEEENST_IJLi3EEEENST_IJLi4EEEENST_IJLi5EEEENST_IJLi6EEEENST_IJLi7EEEENST_IJLi8EEEENST_IJLi9ELi11ELi13EEEENST_IJLi10ELi12ELi14EEEENST_IJLi15EEEENST_IJLi16EEEENST_IJLi18EEEENST_IJLi17EEEEEEENS5_IJNST_IJLi1ELi2ELi3ELi4EEEESZ_S10_S11_S12_NST_IJLi9EEEENST_IJLi10ELi11EEEENST_IJLi12ELi13EEEENST_IJLi14EEEES15_S16_S18_S17_NST_IJLi19ELi20EEEENST_IJLi21EEEEEEENST_IJLi19ELi21ELi20EEEElEENSB_INS5_IJSR_SP_SP_SR_SG_EEENS5_IJSU_SV_SW_SY_SX_EEENS5_IJNST_IJLi1ELi2EEEESX_SY_NST_IJLi5ELi6EEEES11_EEENST_IJLi5ELi7ELi6EEEElEENSB_INS5_IJSK_SP_SP_EEENS5_IJSU_SV_SW_EEENS5_IJS1M_SX_SY_EEENST_IJLi3ELi4EEEElEELi128ELi128ELi16ELi2ELi4ELi4ELi1ENST_IJLi8ELi2EEEES1W_NST_IJLi8ELi1ELi1ELi2EEEENST_IJLi2ELi1ELi128ELi1EEEENST_IJLi1ELi2ELi0ELi3EEEES1Z_NST_IJLi4ELi1ELi1ELi2EEEES1Z_NST_IJLi1ELi1ELi1ELi2EEEES1X_S1Y_S1Z_S1Z_S20_S1Z_S21_NST_IJLi0ELi1ELi2ELi3ELi4ELi5EEEELi5ELi4EEEDF16_NS5_IJPKDF16_EEEDF16_S8_S8_S9_NSB_INS5_IJSE_SG_SI_SI_SG_SG_SK_SK_SG_SN_SN_SP_SP_SR_SG_SG_NSQ_INS5_IJiNS_17integral_constantIiLi128EEEEEELb0EEENSF_INS27_IiLi2EEEEEEEENS5_IJSU_SV_SW_SX_SY_SZ_S10_S11_S12_S13_S14_S15_S16_S17_S18_NST_IJLi19EEEES1G_NST_IJLi20EEEEEEENS5_IJS1A_SZ_S10_S11_S12_S1B_S1C_S1D_S1E_S15_S16_S18_S17_S1F_S1G_NST_IJLi22EEEENST_IJLi23ELi24EEEENST_IJLi25EEEEEEENST_IJLi22ELi23ELi24ELi25EEEElEENSB_INS5_IJSR_SP_SP_SR_SG_SG_S2A_S2C_EEENS5_IJSU_SV_SW_SY_SX_SZ_S11_S10_EEENS5_IJS1M_SX_SY_S1N_S11_S12_NST_IJLi9ELi10EEEENST_IJLi11EEEEEEENST_IJLi8ELi9ELi10ELi11EEEElEENS5_IJNSB_INS5_IJSK_SP_SP_NSQ_INS5_IJiS2B_NS27_IiLi64EEEEEELb0EEES2W_EEENS5_IJSU_SV_SW_SX_SY_EEENS5_IJS1M_SX_SY_NST_IJLi5ELi6ELi7EEEENST_IJLi8ELi9ELi10EEEEEEENST_IJLi5ELi6ELi7ELi8ELi9ELi10EEEElEEEEES33_NS_31BlockToCTileMap_M00_N00_M01_N01ILi128ELi128ES1V_Lb0EEENS1_30ComputePtrOffsetOfStridedBatchILi1ELi1ELi1EvEELb1ELb0EEEvPKT0_S3B_T1_PT2_T3_T4_T5_iT6_T7_T8_T9_T10_T11_,comdat
	.globl	_ZN2ck16tensor_operation6device12_GLOBAL__N_137kernel_grouped_conv_fwd_dl_multiple_dINS_32GridwiseGemmDlMultipleD_km_kn_mnILi256EDF16_fNS_5TupleIJDF16_EEEDF16_NS0_12element_wise11PassThroughES8_NS7_7AddReluELNS_25InMemoryDataOperationEnumE0ENS_16TensorDescriptorINS5_IJNS_5EmbedINS5_IJiiiiEEESD_Lb0EEENS_11PassThroughIiEENS_3PadIiiiLb0EEESI_SG_SG_NSC_INS5_IJiiEEESJ_Lb0EEESK_SG_NS_23Merge_v2_magic_divisionINS5_IJiiiEEEEESN_NS_8RightPadIiiLb0EEESP_NS_7UnMergeISJ_Lb0EEESG_EEENS5_IJNS_8SequenceIJLi0EEEENST_IJLi1EEEENST_IJLi2EEEENST_IJLi3EEEENST_IJLi4EEEENST_IJLi5EEEENST_IJLi6EEEENST_IJLi7EEEENST_IJLi8EEEENST_IJLi9ELi11ELi13EEEENST_IJLi10ELi12ELi14EEEENST_IJLi15EEEENST_IJLi16EEEENST_IJLi18EEEENST_IJLi17EEEEEEENS5_IJNST_IJLi1ELi2ELi3ELi4EEEESZ_S10_S11_S12_NST_IJLi9EEEENST_IJLi10ELi11EEEENST_IJLi12ELi13EEEENST_IJLi14EEEES15_S16_S18_S17_NST_IJLi19ELi20EEEENST_IJLi21EEEEEEENST_IJLi19ELi21ELi20EEEElEENSB_INS5_IJSR_SP_SP_SR_SG_EEENS5_IJSU_SV_SW_SY_SX_EEENS5_IJNST_IJLi1ELi2EEEESX_SY_NST_IJLi5ELi6EEEES11_EEENST_IJLi5ELi7ELi6EEEElEENSB_INS5_IJSK_SP_SP_EEENS5_IJSU_SV_SW_EEENS5_IJS1M_SX_SY_EEENST_IJLi3ELi4EEEElEELi128ELi128ELi16ELi2ELi4ELi4ELi1ENST_IJLi8ELi2EEEES1W_NST_IJLi8ELi1ELi1ELi2EEEENST_IJLi2ELi1ELi128ELi1EEEENST_IJLi1ELi2ELi0ELi3EEEES1Z_NST_IJLi4ELi1ELi1ELi2EEEES1Z_NST_IJLi1ELi1ELi1ELi2EEEES1X_S1Y_S1Z_S1Z_S20_S1Z_S21_NST_IJLi0ELi1ELi2ELi3ELi4ELi5EEEELi5ELi4EEEDF16_NS5_IJPKDF16_EEEDF16_S8_S8_S9_NSB_INS5_IJSE_SG_SI_SI_SG_SG_SK_SK_SG_SN_SN_SP_SP_SR_SG_SG_NSQ_INS5_IJiNS_17integral_constantIiLi128EEEEEELb0EEENSF_INS27_IiLi2EEEEEEEENS5_IJSU_SV_SW_SX_SY_SZ_S10_S11_S12_S13_S14_S15_S16_S17_S18_NST_IJLi19EEEES1G_NST_IJLi20EEEEEEENS5_IJS1A_SZ_S10_S11_S12_S1B_S1C_S1D_S1E_S15_S16_S18_S17_S1F_S1G_NST_IJLi22EEEENST_IJLi23ELi24EEEENST_IJLi25EEEEEEENST_IJLi22ELi23ELi24ELi25EEEElEENSB_INS5_IJSR_SP_SP_SR_SG_SG_S2A_S2C_EEENS5_IJSU_SV_SW_SY_SX_SZ_S11_S10_EEENS5_IJS1M_SX_SY_S1N_S11_S12_NST_IJLi9ELi10EEEENST_IJLi11EEEEEEENST_IJLi8ELi9ELi10ELi11EEEElEENS5_IJNSB_INS5_IJSK_SP_SP_NSQ_INS5_IJiS2B_NS27_IiLi64EEEEEELb0EEES2W_EEENS5_IJSU_SV_SW_SX_SY_EEENS5_IJS1M_SX_SY_NST_IJLi5ELi6ELi7EEEENST_IJLi8ELi9ELi10EEEEEEENST_IJLi5ELi6ELi7ELi8ELi9ELi10EEEElEEEEES33_NS_31BlockToCTileMap_M00_N00_M01_N01ILi128ELi128ES1V_Lb0EEENS1_30ComputePtrOffsetOfStridedBatchILi1ELi1ELi1EvEELb1ELb0EEEvPKT0_S3B_T1_PT2_T3_T4_T5_iT6_T7_T8_T9_T10_T11_ ; -- Begin function _ZN2ck16tensor_operation6device12_GLOBAL__N_137kernel_grouped_conv_fwd_dl_multiple_dINS_32GridwiseGemmDlMultipleD_km_kn_mnILi256EDF16_fNS_5TupleIJDF16_EEEDF16_NS0_12element_wise11PassThroughES8_NS7_7AddReluELNS_25InMemoryDataOperationEnumE0ENS_16TensorDescriptorINS5_IJNS_5EmbedINS5_IJiiiiEEESD_Lb0EEENS_11PassThroughIiEENS_3PadIiiiLb0EEESI_SG_SG_NSC_INS5_IJiiEEESJ_Lb0EEESK_SG_NS_23Merge_v2_magic_divisionINS5_IJiiiEEEEESN_NS_8RightPadIiiLb0EEESP_NS_7UnMergeISJ_Lb0EEESG_EEENS5_IJNS_8SequenceIJLi0EEEENST_IJLi1EEEENST_IJLi2EEEENST_IJLi3EEEENST_IJLi4EEEENST_IJLi5EEEENST_IJLi6EEEENST_IJLi7EEEENST_IJLi8EEEENST_IJLi9ELi11ELi13EEEENST_IJLi10ELi12ELi14EEEENST_IJLi15EEEENST_IJLi16EEEENST_IJLi18EEEENST_IJLi17EEEEEEENS5_IJNST_IJLi1ELi2ELi3ELi4EEEESZ_S10_S11_S12_NST_IJLi9EEEENST_IJLi10ELi11EEEENST_IJLi12ELi13EEEENST_IJLi14EEEES15_S16_S18_S17_NST_IJLi19ELi20EEEENST_IJLi21EEEEEEENST_IJLi19ELi21ELi20EEEElEENSB_INS5_IJSR_SP_SP_SR_SG_EEENS5_IJSU_SV_SW_SY_SX_EEENS5_IJNST_IJLi1ELi2EEEESX_SY_NST_IJLi5ELi6EEEES11_EEENST_IJLi5ELi7ELi6EEEElEENSB_INS5_IJSK_SP_SP_EEENS5_IJSU_SV_SW_EEENS5_IJS1M_SX_SY_EEENST_IJLi3ELi4EEEElEELi128ELi128ELi16ELi2ELi4ELi4ELi1ENST_IJLi8ELi2EEEES1W_NST_IJLi8ELi1ELi1ELi2EEEENST_IJLi2ELi1ELi128ELi1EEEENST_IJLi1ELi2ELi0ELi3EEEES1Z_NST_IJLi4ELi1ELi1ELi2EEEES1Z_NST_IJLi1ELi1ELi1ELi2EEEES1X_S1Y_S1Z_S1Z_S20_S1Z_S21_NST_IJLi0ELi1ELi2ELi3ELi4ELi5EEEELi5ELi4EEEDF16_NS5_IJPKDF16_EEEDF16_S8_S8_S9_NSB_INS5_IJSE_SG_SI_SI_SG_SG_SK_SK_SG_SN_SN_SP_SP_SR_SG_SG_NSQ_INS5_IJiNS_17integral_constantIiLi128EEEEEELb0EEENSF_INS27_IiLi2EEEEEEEENS5_IJSU_SV_SW_SX_SY_SZ_S10_S11_S12_S13_S14_S15_S16_S17_S18_NST_IJLi19EEEES1G_NST_IJLi20EEEEEEENS5_IJS1A_SZ_S10_S11_S12_S1B_S1C_S1D_S1E_S15_S16_S18_S17_S1F_S1G_NST_IJLi22EEEENST_IJLi23ELi24EEEENST_IJLi25EEEEEEENST_IJLi22ELi23ELi24ELi25EEEElEENSB_INS5_IJSR_SP_SP_SR_SG_SG_S2A_S2C_EEENS5_IJSU_SV_SW_SY_SX_SZ_S11_S10_EEENS5_IJS1M_SX_SY_S1N_S11_S12_NST_IJLi9ELi10EEEENST_IJLi11EEEEEEENST_IJLi8ELi9ELi10ELi11EEEElEENS5_IJNSB_INS5_IJSK_SP_SP_NSQ_INS5_IJiS2B_NS27_IiLi64EEEEEELb0EEES2W_EEENS5_IJSU_SV_SW_SX_SY_EEENS5_IJS1M_SX_SY_NST_IJLi5ELi6ELi7EEEENST_IJLi8ELi9ELi10EEEEEEENST_IJLi5ELi6ELi7ELi8ELi9ELi10EEEElEEEEES33_NS_31BlockToCTileMap_M00_N00_M01_N01ILi128ELi128ES1V_Lb0EEENS1_30ComputePtrOffsetOfStridedBatchILi1ELi1ELi1EvEELb1ELb0EEEvPKT0_S3B_T1_PT2_T3_T4_T5_iT6_T7_T8_T9_T10_T11_
	.p2align	8
	.type	_ZN2ck16tensor_operation6device12_GLOBAL__N_137kernel_grouped_conv_fwd_dl_multiple_dINS_32GridwiseGemmDlMultipleD_km_kn_mnILi256EDF16_fNS_5TupleIJDF16_EEEDF16_NS0_12element_wise11PassThroughES8_NS7_7AddReluELNS_25InMemoryDataOperationEnumE0ENS_16TensorDescriptorINS5_IJNS_5EmbedINS5_IJiiiiEEESD_Lb0EEENS_11PassThroughIiEENS_3PadIiiiLb0EEESI_SG_SG_NSC_INS5_IJiiEEESJ_Lb0EEESK_SG_NS_23Merge_v2_magic_divisionINS5_IJiiiEEEEESN_NS_8RightPadIiiLb0EEESP_NS_7UnMergeISJ_Lb0EEESG_EEENS5_IJNS_8SequenceIJLi0EEEENST_IJLi1EEEENST_IJLi2EEEENST_IJLi3EEEENST_IJLi4EEEENST_IJLi5EEEENST_IJLi6EEEENST_IJLi7EEEENST_IJLi8EEEENST_IJLi9ELi11ELi13EEEENST_IJLi10ELi12ELi14EEEENST_IJLi15EEEENST_IJLi16EEEENST_IJLi18EEEENST_IJLi17EEEEEEENS5_IJNST_IJLi1ELi2ELi3ELi4EEEESZ_S10_S11_S12_NST_IJLi9EEEENST_IJLi10ELi11EEEENST_IJLi12ELi13EEEENST_IJLi14EEEES15_S16_S18_S17_NST_IJLi19ELi20EEEENST_IJLi21EEEEEEENST_IJLi19ELi21ELi20EEEElEENSB_INS5_IJSR_SP_SP_SR_SG_EEENS5_IJSU_SV_SW_SY_SX_EEENS5_IJNST_IJLi1ELi2EEEESX_SY_NST_IJLi5ELi6EEEES11_EEENST_IJLi5ELi7ELi6EEEElEENSB_INS5_IJSK_SP_SP_EEENS5_IJSU_SV_SW_EEENS5_IJS1M_SX_SY_EEENST_IJLi3ELi4EEEElEELi128ELi128ELi16ELi2ELi4ELi4ELi1ENST_IJLi8ELi2EEEES1W_NST_IJLi8ELi1ELi1ELi2EEEENST_IJLi2ELi1ELi128ELi1EEEENST_IJLi1ELi2ELi0ELi3EEEES1Z_NST_IJLi4ELi1ELi1ELi2EEEES1Z_NST_IJLi1ELi1ELi1ELi2EEEES1X_S1Y_S1Z_S1Z_S20_S1Z_S21_NST_IJLi0ELi1ELi2ELi3ELi4ELi5EEEELi5ELi4EEEDF16_NS5_IJPKDF16_EEEDF16_S8_S8_S9_NSB_INS5_IJSE_SG_SI_SI_SG_SG_SK_SK_SG_SN_SN_SP_SP_SR_SG_SG_NSQ_INS5_IJiNS_17integral_constantIiLi128EEEEEELb0EEENSF_INS27_IiLi2EEEEEEEENS5_IJSU_SV_SW_SX_SY_SZ_S10_S11_S12_S13_S14_S15_S16_S17_S18_NST_IJLi19EEEES1G_NST_IJLi20EEEEEEENS5_IJS1A_SZ_S10_S11_S12_S1B_S1C_S1D_S1E_S15_S16_S18_S17_S1F_S1G_NST_IJLi22EEEENST_IJLi23ELi24EEEENST_IJLi25EEEEEEENST_IJLi22ELi23ELi24ELi25EEEElEENSB_INS5_IJSR_SP_SP_SR_SG_SG_S2A_S2C_EEENS5_IJSU_SV_SW_SY_SX_SZ_S11_S10_EEENS5_IJS1M_SX_SY_S1N_S11_S12_NST_IJLi9ELi10EEEENST_IJLi11EEEEEEENST_IJLi8ELi9ELi10ELi11EEEElEENS5_IJNSB_INS5_IJSK_SP_SP_NSQ_INS5_IJiS2B_NS27_IiLi64EEEEEELb0EEES2W_EEENS5_IJSU_SV_SW_SX_SY_EEENS5_IJS1M_SX_SY_NST_IJLi5ELi6ELi7EEEENST_IJLi8ELi9ELi10EEEEEEENST_IJLi5ELi6ELi7ELi8ELi9ELi10EEEElEEEEES33_NS_31BlockToCTileMap_M00_N00_M01_N01ILi128ELi128ES1V_Lb0EEENS1_30ComputePtrOffsetOfStridedBatchILi1ELi1ELi1EvEELb1ELb0EEEvPKT0_S3B_T1_PT2_T3_T4_T5_iT6_T7_T8_T9_T10_T11_,@function
_ZN2ck16tensor_operation6device12_GLOBAL__N_137kernel_grouped_conv_fwd_dl_multiple_dINS_32GridwiseGemmDlMultipleD_km_kn_mnILi256EDF16_fNS_5TupleIJDF16_EEEDF16_NS0_12element_wise11PassThroughES8_NS7_7AddReluELNS_25InMemoryDataOperationEnumE0ENS_16TensorDescriptorINS5_IJNS_5EmbedINS5_IJiiiiEEESD_Lb0EEENS_11PassThroughIiEENS_3PadIiiiLb0EEESI_SG_SG_NSC_INS5_IJiiEEESJ_Lb0EEESK_SG_NS_23Merge_v2_magic_divisionINS5_IJiiiEEEEESN_NS_8RightPadIiiLb0EEESP_NS_7UnMergeISJ_Lb0EEESG_EEENS5_IJNS_8SequenceIJLi0EEEENST_IJLi1EEEENST_IJLi2EEEENST_IJLi3EEEENST_IJLi4EEEENST_IJLi5EEEENST_IJLi6EEEENST_IJLi7EEEENST_IJLi8EEEENST_IJLi9ELi11ELi13EEEENST_IJLi10ELi12ELi14EEEENST_IJLi15EEEENST_IJLi16EEEENST_IJLi18EEEENST_IJLi17EEEEEEENS5_IJNST_IJLi1ELi2ELi3ELi4EEEESZ_S10_S11_S12_NST_IJLi9EEEENST_IJLi10ELi11EEEENST_IJLi12ELi13EEEENST_IJLi14EEEES15_S16_S18_S17_NST_IJLi19ELi20EEEENST_IJLi21EEEEEEENST_IJLi19ELi21ELi20EEEElEENSB_INS5_IJSR_SP_SP_SR_SG_EEENS5_IJSU_SV_SW_SY_SX_EEENS5_IJNST_IJLi1ELi2EEEESX_SY_NST_IJLi5ELi6EEEES11_EEENST_IJLi5ELi7ELi6EEEElEENSB_INS5_IJSK_SP_SP_EEENS5_IJSU_SV_SW_EEENS5_IJS1M_SX_SY_EEENST_IJLi3ELi4EEEElEELi128ELi128ELi16ELi2ELi4ELi4ELi1ENST_IJLi8ELi2EEEES1W_NST_IJLi8ELi1ELi1ELi2EEEENST_IJLi2ELi1ELi128ELi1EEEENST_IJLi1ELi2ELi0ELi3EEEES1Z_NST_IJLi4ELi1ELi1ELi2EEEES1Z_NST_IJLi1ELi1ELi1ELi2EEEES1X_S1Y_S1Z_S1Z_S20_S1Z_S21_NST_IJLi0ELi1ELi2ELi3ELi4ELi5EEEELi5ELi4EEEDF16_NS5_IJPKDF16_EEEDF16_S8_S8_S9_NSB_INS5_IJSE_SG_SI_SI_SG_SG_SK_SK_SG_SN_SN_SP_SP_SR_SG_SG_NSQ_INS5_IJiNS_17integral_constantIiLi128EEEEEELb0EEENSF_INS27_IiLi2EEEEEEEENS5_IJSU_SV_SW_SX_SY_SZ_S10_S11_S12_S13_S14_S15_S16_S17_S18_NST_IJLi19EEEES1G_NST_IJLi20EEEEEEENS5_IJS1A_SZ_S10_S11_S12_S1B_S1C_S1D_S1E_S15_S16_S18_S17_S1F_S1G_NST_IJLi22EEEENST_IJLi23ELi24EEEENST_IJLi25EEEEEEENST_IJLi22ELi23ELi24ELi25EEEElEENSB_INS5_IJSR_SP_SP_SR_SG_SG_S2A_S2C_EEENS5_IJSU_SV_SW_SY_SX_SZ_S11_S10_EEENS5_IJS1M_SX_SY_S1N_S11_S12_NST_IJLi9ELi10EEEENST_IJLi11EEEEEEENST_IJLi8ELi9ELi10ELi11EEEElEENS5_IJNSB_INS5_IJSK_SP_SP_NSQ_INS5_IJiS2B_NS27_IiLi64EEEEEELb0EEES2W_EEENS5_IJSU_SV_SW_SX_SY_EEENS5_IJS1M_SX_SY_NST_IJLi5ELi6ELi7EEEENST_IJLi8ELi9ELi10EEEEEEENST_IJLi5ELi6ELi7ELi8ELi9ELi10EEEElEEEEES33_NS_31BlockToCTileMap_M00_N00_M01_N01ILi128ELi128ES1V_Lb0EEENS1_30ComputePtrOffsetOfStridedBatchILi1ELi1ELi1EvEELb1ELb0EEEvPKT0_S3B_T1_PT2_T3_T4_T5_iT6_T7_T8_T9_T10_T11_: ; @_ZN2ck16tensor_operation6device12_GLOBAL__N_137kernel_grouped_conv_fwd_dl_multiple_dINS_32GridwiseGemmDlMultipleD_km_kn_mnILi256EDF16_fNS_5TupleIJDF16_EEEDF16_NS0_12element_wise11PassThroughES8_NS7_7AddReluELNS_25InMemoryDataOperationEnumE0ENS_16TensorDescriptorINS5_IJNS_5EmbedINS5_IJiiiiEEESD_Lb0EEENS_11PassThroughIiEENS_3PadIiiiLb0EEESI_SG_SG_NSC_INS5_IJiiEEESJ_Lb0EEESK_SG_NS_23Merge_v2_magic_divisionINS5_IJiiiEEEEESN_NS_8RightPadIiiLb0EEESP_NS_7UnMergeISJ_Lb0EEESG_EEENS5_IJNS_8SequenceIJLi0EEEENST_IJLi1EEEENST_IJLi2EEEENST_IJLi3EEEENST_IJLi4EEEENST_IJLi5EEEENST_IJLi6EEEENST_IJLi7EEEENST_IJLi8EEEENST_IJLi9ELi11ELi13EEEENST_IJLi10ELi12ELi14EEEENST_IJLi15EEEENST_IJLi16EEEENST_IJLi18EEEENST_IJLi17EEEEEEENS5_IJNST_IJLi1ELi2ELi3ELi4EEEESZ_S10_S11_S12_NST_IJLi9EEEENST_IJLi10ELi11EEEENST_IJLi12ELi13EEEENST_IJLi14EEEES15_S16_S18_S17_NST_IJLi19ELi20EEEENST_IJLi21EEEEEEENST_IJLi19ELi21ELi20EEEElEENSB_INS5_IJSR_SP_SP_SR_SG_EEENS5_IJSU_SV_SW_SY_SX_EEENS5_IJNST_IJLi1ELi2EEEESX_SY_NST_IJLi5ELi6EEEES11_EEENST_IJLi5ELi7ELi6EEEElEENSB_INS5_IJSK_SP_SP_EEENS5_IJSU_SV_SW_EEENS5_IJS1M_SX_SY_EEENST_IJLi3ELi4EEEElEELi128ELi128ELi16ELi2ELi4ELi4ELi1ENST_IJLi8ELi2EEEES1W_NST_IJLi8ELi1ELi1ELi2EEEENST_IJLi2ELi1ELi128ELi1EEEENST_IJLi1ELi2ELi0ELi3EEEES1Z_NST_IJLi4ELi1ELi1ELi2EEEES1Z_NST_IJLi1ELi1ELi1ELi2EEEES1X_S1Y_S1Z_S1Z_S20_S1Z_S21_NST_IJLi0ELi1ELi2ELi3ELi4ELi5EEEELi5ELi4EEEDF16_NS5_IJPKDF16_EEEDF16_S8_S8_S9_NSB_INS5_IJSE_SG_SI_SI_SG_SG_SK_SK_SG_SN_SN_SP_SP_SR_SG_SG_NSQ_INS5_IJiNS_17integral_constantIiLi128EEEEEELb0EEENSF_INS27_IiLi2EEEEEEEENS5_IJSU_SV_SW_SX_SY_SZ_S10_S11_S12_S13_S14_S15_S16_S17_S18_NST_IJLi19EEEES1G_NST_IJLi20EEEEEEENS5_IJS1A_SZ_S10_S11_S12_S1B_S1C_S1D_S1E_S15_S16_S18_S17_S1F_S1G_NST_IJLi22EEEENST_IJLi23ELi24EEEENST_IJLi25EEEEEEENST_IJLi22ELi23ELi24ELi25EEEElEENSB_INS5_IJSR_SP_SP_SR_SG_SG_S2A_S2C_EEENS5_IJSU_SV_SW_SY_SX_SZ_S11_S10_EEENS5_IJS1M_SX_SY_S1N_S11_S12_NST_IJLi9ELi10EEEENST_IJLi11EEEEEEENST_IJLi8ELi9ELi10ELi11EEEElEENS5_IJNSB_INS5_IJSK_SP_SP_NSQ_INS5_IJiS2B_NS27_IiLi64EEEEEELb0EEES2W_EEENS5_IJSU_SV_SW_SX_SY_EEENS5_IJS1M_SX_SY_NST_IJLi5ELi6ELi7EEEENST_IJLi8ELi9ELi10EEEEEEENST_IJLi5ELi6ELi7ELi8ELi9ELi10EEEElEEEEES33_NS_31BlockToCTileMap_M00_N00_M01_N01ILi128ELi128ES1V_Lb0EEENS1_30ComputePtrOffsetOfStridedBatchILi1ELi1ELi1EvEELb1ELb0EEEvPKT0_S3B_T1_PT2_T3_T4_T5_iT6_T7_T8_T9_T10_T11_
; %bb.0:
	s_load_dword s3, s[0:1], 0x24
	s_load_dwordx4 s[28:31], s[0:1], 0x0
	s_load_dwordx2 s[50:51], s[0:1], 0x18
	s_load_dwordx4 s[24:27], s[0:1], 0x38
	s_load_dword s59, s[0:1], 0x50
	s_load_dwordx4 s[12:15], s[0:1], 0x4c
	s_waitcnt lgkmcnt(0)
	s_abs_i32 s4, s3
	v_cvt_f32_u32_e32 v1, s4
	s_load_dword s60, s[0:1], 0x5c
	s_load_dwordx4 s[40:43], s[0:1], 0x58
	s_load_dword s5, s[0:1], 0x2c8
	s_sub_i32 s6, 0, s4
	s_load_dwordx2 s[34:35], s[0:1], 0xac
	s_load_dwordx2 s[52:53], s[0:1], 0xbc
	;; [unrolled: 1-line block ×4, first 2 shown]
	v_rcp_iflag_f32_e32 v1, v1
	v_lshrrev_b32_e32 v22, 1, v0
	s_waitcnt lgkmcnt(0)
	s_xor_b32 s3, s5, s3
	s_abs_i32 s5, s5
	v_mul_f32_e32 v1, 0x4f7ffffe, v1
	v_cvt_u32_f32_e32 v1, v1
	s_ashr_i32 s3, s3, 31
	v_lshrrev_b32_e32 v29, 5, v0
	v_lshlrev_b32_e32 v31, 1, v0
	v_readfirstlane_b32 s7, v1
	s_mul_i32 s6, s6, s7
	s_mul_hi_u32 s6, s7, s6
	s_add_i32 s7, s7, s6
	s_mul_hi_u32 s6, s5, s7
	s_mul_i32 s7, s6, s4
	s_sub_i32 s5, s5, s7
	s_add_i32 s7, s6, 1
	s_sub_i32 s8, s5, s4
	s_cmp_ge_u32 s5, s4
	s_cselect_b32 s6, s7, s6
	s_cselect_b32 s5, s8, s5
	s_add_i32 s7, s6, 1
	s_cmp_ge_u32 s5, s4
	s_cselect_b32 s4, s7, s6
	s_xor_b32 s4, s4, s3
	s_sub_i32 s15, s4, s3
	s_abs_i32 s36, s15
	v_cvt_f32_u32_e32 v1, s36
	s_load_dword s13, s[0:1], 0x160
	s_load_dword s3, s[0:1], 0x188
	s_load_dwordx2 s[48:49], s[0:1], 0x198
	s_load_dword s33, s[0:1], 0x1a4
	s_load_dword s41, s[0:1], 0x1b0
	s_load_dwordx8 s[4:11], s[0:1], 0x264
	s_waitcnt lgkmcnt(0)
	s_xor_b32 s5, s2, s15
	s_sub_i32 s15, 0, s36
	v_rcp_iflag_f32_e32 v1, v1
	s_abs_i32 s7, s2
	s_ashr_i32 s5, s5, 31
	s_load_dwordx4 s[44:47], s[0:1], 0x288
	s_load_dwordx8 s[16:23], s[0:1], 0x2a0
	v_mul_f32_e32 v1, 0x4f7ffffe, v1
	v_cvt_u32_f32_e32 v1, v1
	s_mul_hi_u32 s11, s11, s2
	v_lshlrev_b32_e32 v30, 6, v29
	v_and_b32_e32 v32, 0x1f8, v31
	v_readfirstlane_b32 s37, v1
	s_mul_i32 s15, s15, s37
	s_mul_hi_u32 s15, s37, s15
	s_add_i32 s37, s37, s15
	s_mul_hi_u32 s15, s7, s37
	s_mul_i32 s37, s15, s36
	s_sub_i32 s7, s7, s37
	s_add_i32 s37, s15, 1
	s_sub_i32 s38, s7, s36
	s_cmp_ge_u32 s7, s36
	s_cselect_b32 s15, s37, s15
	s_cselect_b32 s7, s38, s7
	s_add_i32 s37, s15, 1
	s_cmp_ge_u32 s7, s36
	s_cselect_b32 s7, s37, s15
	s_xor_b32 s7, s7, s5
	s_sub_i32 s61, s7, s5
	s_ashr_i32 s62, s61, 31
	s_waitcnt lgkmcnt(0)
	s_mul_i32 s5, s16, s62
	s_mul_hi_u32 s7, s16, s61
	s_add_i32 s5, s7, s5
	s_mul_i32 s7, s17, s61
	s_add_i32 s17, s5, s7
	s_mul_i32 s5, s18, s62
	s_mul_hi_u32 s7, s18, s61
	s_mul_i32 s16, s16, s61
	s_add_i32 s5, s7, s5
	s_mul_i32 s7, s19, s61
	s_add_i32 s19, s5, s7
	s_lshl_b64 s[16:17], s[16:17], 1
	s_mul_i32 s18, s18, s61
	s_add_u32 s28, s28, s16
	s_addc_u32 s7, s29, s17
	s_lshl_b64 s[16:17], s[18:19], 1
	s_add_u32 s36, s30, s16
	s_addc_u32 s5, s31, s17
	s_add_i32 s11, s2, s11
	s_lshr_b32 s11, s11, s47
	s_mul_hi_u32 s10, s11, s10
	s_add_i32 s10, s11, s10
	s_lshr_b32 s10, s10, s46
	s_mul_hi_u32 s9, s10, s9
	s_load_dword s15, s[0:1], 0x244
	s_load_dword s29, s[0:1], 0x254
	s_load_dwordx4 s[16:19], s[0:1], 0x260
	s_add_i32 s9, s10, s9
	s_lshr_b32 s9, s9, s45
	s_mul_i32 s6, s11, s6
	s_sub_i32 s58, s2, s6
	s_mul_hi_u32 s2, s9, s8
	s_add_i32 s2, s9, s2
	s_lshr_b32 s2, s2, s44
	s_mul_i32 s4, s9, s4
	s_waitcnt lgkmcnt(0)
	s_mul_i32 s2, s2, s16
	s_sub_i32 s4, s10, s4
	s_mul_i32 s10, s10, s18
	s_sub_i32 s2, s9, s2
	v_lshlrev_b32_e32 v1, 3, v0
	s_sub_i32 s6, s11, s10
	s_mul_i32 s4, s4, s29
	s_load_dwordx2 s[44:45], s[0:1], 0x228
	s_mul_i32 s2, s2, s15
	v_and_b32_e32 v23, 8, v1
	s_add_i32 s58, s58, s4
	s_waitcnt lgkmcnt(0)
	s_add_i32 s45, s6, s2
	s_load_dword s15, s[0:1], 0x100
	s_load_dword s67, s[0:1], 0x10c
	;; [unrolled: 1-line block ×7, first 2 shown]
	s_waitcnt lgkmcnt(0)
	v_mul_lo_u32 v24, s15, v23
	v_mul_hi_u32 v1, v24, s55
	v_add_u32_e32 v1, v24, v1
	v_lshrrev_b32_e32 v3, s57, v1
	v_mul_lo_u32 v1, v3, s53
	s_lshl_b32 s74, s15, 2
	v_sub_u32_e32 v4, v24, v1
	v_mul_hi_u32 v1, v3, s54
	v_add_u32_e32 v92, s74, v24
	v_add_u32_e32 v5, v3, v1
	v_mul_hi_u32 v1, v92, s55
	v_add_u32_e32 v1, v92, v1
	v_lshrrev_b32_e32 v7, s57, v1
	v_mul_lo_u32 v1, v7, s53
	s_and_b32 s29, s7, 0xffff
	v_sub_u32_e32 v1, v92, v1
	s_load_dwordx2 s[6:7], s[0:1], 0xa0
	s_load_dwordx2 s[16:17], s[0:1], 0x74
	;; [unrolled: 1-line block ×4, first 2 shown]
	v_lshrrev_b32_e32 v9, s56, v5
	v_mul_lo_u32 v2, v4, s27
	v_sub_u32_e32 v8, v1, v4
	v_lshl_or_b32 v27, s45, 7, v22
	v_mul_lo_u32 v4, v9, s52
	v_sub_u32_e32 v10, v3, v4
	s_waitcnt lgkmcnt(0)
	v_mul_hi_u32 v3, v27, s7
	v_add_u32_e32 v3, v27, v3
	v_lshrrev_b32_e32 v3, s35, v3
	v_mul_hi_u32 v4, v3, s6
	v_add_u32_e32 v4, v3, v4
	v_lshrrev_b32_e32 v5, s34, v4
	v_mul_lo_u32 v4, v5, s8
	v_mul_lo_u32 v6, v3, s9
	v_sub_u32_e32 v3, v3, v4
	v_sub_u32_e32 v11, v27, v6
	v_mul_lo_u32 v4, v10, s18
	v_mul_lo_u32 v6, v9, s16
	v_mad_u64_u32 v[18:19], s[6:7], v3, s17, v[6:7]
	v_mad_u64_u32 v[20:21], s[6:7], v11, s19, v[4:5]
	v_subrev_u32_e32 v3, s60, v20
	v_subrev_u32_e32 v4, s59, v18
	v_mul_hi_u32 v6, v7, s54
	v_mul_lo_u32 v5, v5, s24
	v_mul_lo_u32 v4, v4, s25
	v_mad_u64_u32 v[2:3], s[6:7], v3, s26, v[2:3]
	v_add_u32_e32 v6, v7, v6
	v_add3_u32 v11, v2, v5, v4
	v_lshrrev_b32_e32 v111, s56, v6
	s_lshl_b32 s30, s2, 1
	s_mov_b32 s31, 0x20000
	v_lshlrev_b32_e32 v2, 1, v11
	v_mul_lo_u32 v6, v111, s52
	buffer_load_dwordx4 v[2:5], v2, s[28:31], 0 offen
	v_sub_u32_e32 v112, v7, v6
	v_sub_u32_e32 v6, v111, v9
	;; [unrolled: 1-line block ×3, first 2 shown]
	v_mul_lo_u32 v19, v7, s18
	v_mul_lo_u32 v21, v6, s16
	;; [unrolled: 1-line block ×4, first 2 shown]
	v_mad_u64_u32 v[6:7], s[6:7], v21, s25, v[6:7]
	v_lshl_or_b32 v25, s58, 7, v22
	v_add3_u32 v80, v6, v9, v11
	v_mul_lo_u32 v26, s13, v23
	v_lshlrev_b32_e32 v6, 1, v80
	v_mul_lo_u32 v28, v25, s4
	buffer_load_dwordx4 v[6:9], v6, s[28:31], 0 offen
	v_add_u32_e32 v14, v28, v26
	s_and_b32 s37, s5, 0xffff
	s_lshl_b32 s10, s3, 1
	s_mov_b32 s8, s36
	s_mov_b32 s9, s37
	;; [unrolled: 1-line block ×3, first 2 shown]
	v_lshlrev_b32_e32 v10, 1, v14
	buffer_load_dwordx4 v[10:13], v10, s[8:11], 0 offen
	s_lshl_b32 s17, s13, 2
	v_add_lshl_u32 v14, v14, s17, 1
	buffer_load_dwordx4 v[14:17], v14, s[8:11], 0 offen
	s_sub_i32 s40, s40, s42
	s_load_dword s4, s[0:1], 0xe4
	s_load_dwordx2 s[46:47], s[0:1], 0x1d8
	s_load_dwordx2 s[34:35], s[0:1], 0x1e8
	s_load_dword s24, s[0:1], 0x1f4
	s_load_dword s43, s[0:1], 0x200
	v_cmp_gt_i32_e64 s[2:3], s64, v24
	v_cmp_gt_i32_e64 s[6:7], s40, v20
	s_sub_i32 s42, s12, s14
	s_waitcnt lgkmcnt(0)
	v_cmp_gt_i32_e32 vcc, s4, v27
	v_cmp_le_i32_e64 s[4:5], s60, v20
	s_and_b64 s[2:3], s[6:7], s[2:3]
	s_and_b64 s[6:7], s[2:3], s[4:5]
	v_cmp_le_i32_e64 s[2:3], s59, v18
	v_cmp_gt_i32_e64 s[4:5], s42, v18
	s_and_b64 s[2:3], s[2:3], s[4:5]
	v_sub_u32_e32 v30, v32, v30
	v_lshlrev_b32_e32 v0, 2, v0
	s_and_b64 s[2:3], s[6:7], s[2:3]
	v_and_or_b32 v85, v0, 4, v30
	v_lshlrev_b32_e32 v0, 3, v29
	s_and_b64 s[2:3], vcc, s[2:3]
	v_add_u32_e32 v81, v20, v19
	v_and_or_b32 v89, v31, 4, v0
	v_cmp_gt_i32_e64 s[6:7], s40, v81
	v_add_u32_e32 v82, v18, v21
	v_cmp_le_i32_e64 s[4:5], s60, v81
	s_mov_b32 s47, 0
	s_mov_b32 s65, s16
	;; [unrolled: 1-line block ×4, first 2 shown]
	v_lshlrev_b32_e32 v90, 2, v89
	v_lshlrev_b32_e32 v91, 2, v85
	s_sub_i32 s67, s67, 32
	s_mul_i32 s68, s18, s26
	s_mul_i32 s69, s16, s25
	s_lshl_b32 s70, s13, 5
	v_lshlrev_b32_e32 v99, 1, v28
	s_lshl_b32 s71, s13, 6
	s_lshl_b32 s72, s15, 5
	s_sub_i32 s73, 0, s53
	v_mov_b32_e32 v40, 0
	s_mov_b32 s75, 0
	v_mov_b32_e32 v37, 0
	v_mov_b32_e32 v36, 0
	;; [unrolled: 1-line block ×14, first 2 shown]
	s_waitcnt vmcnt(3)
	v_cndmask_b32_e64 v0, 0, v5, s[2:3]
	v_cndmask_b32_e64 v4, 0, v4, s[2:3]
	;; [unrolled: 1-line block ×4, first 2 shown]
	v_cmp_gt_i32_e64 s[2:3], s64, v92
	s_and_b64 s[2:3], s[6:7], s[2:3]
	s_and_b64 s[6:7], s[2:3], s[4:5]
	v_cmp_le_i32_e64 s[2:3], s59, v82
	v_cmp_gt_i32_e64 s[4:5], s42, v82
	s_and_b64 s[2:3], s[2:3], s[4:5]
	s_and_b64 s[2:3], s[6:7], s[2:3]
	s_and_b64 s[2:3], vcc, s[2:3]
	v_cmp_gt_i32_e64 s[4:5], s63, v26
	v_mov_b32_e32 v21, 0
	v_mov_b32_e32 v20, 0
	s_waitcnt vmcnt(2)
	v_cndmask_b32_e64 v5, 0, v9, s[2:3]
	v_cndmask_b32_e64 v8, 0, v8, s[2:3]
	;; [unrolled: 1-line block ×4, first 2 shown]
	v_cmp_gt_i32_e64 s[2:3], s38, v25
	s_and_b64 s[4:5], s[4:5], s[2:3]
	s_mov_b32 s38, s10
	v_mov_b32_e32 v25, 0
	s_waitcnt vmcnt(1)
	v_cndmask_b32_e64 v9, 0, v13, s[4:5]
	v_add_u32_e32 v13, s17, v26
	v_cndmask_b32_e64 v12, 0, v12, s[4:5]
	v_cndmask_b32_e64 v11, 0, v11, s[4:5]
	;; [unrolled: 1-line block ×3, first 2 shown]
	v_cmp_gt_i32_e64 s[4:5], s63, v13
	s_and_b64 s[4:5], s[4:5], s[2:3]
	v_mov_b32_e32 v26, 0
	s_waitcnt vmcnt(0)
	v_cndmask_b32_e64 v13, 0, v17, s[4:5]
	v_lshlrev_b32_e32 v17, 2, v22
	v_lshl_or_b32 v93, v23, 9, v17
	v_cndmask_b32_e64 v16, 0, v16, s[4:5]
	v_cndmask_b32_e64 v15, 0, v15, s[4:5]
	;; [unrolled: 1-line block ×3, first 2 shown]
	ds_write2st64_b32 v93, v2, v3 offset1:2
	ds_write2st64_b32 v93, v4, v0 offset0:4 offset1:6
	ds_write2st64_b32 v93, v6, v7 offset0:8 offset1:10
	;; [unrolled: 1-line block ×7, first 2 shown]
	v_or_b32_e32 v0, 36, v23
	v_or_b32_e32 v2, 32, v23
	;; [unrolled: 1-line block ×4, first 2 shown]
	s_mul_i32 s4, s15, 12
	v_mul_lo_u32 v94, s13, v0
	v_mul_lo_u32 v95, s13, v2
	;; [unrolled: 1-line block ×8, first 2 shown]
	v_lshlrev_b32_e32 v98, 1, v94
	v_lshlrev_b32_e32 v100, 1, v95
	;; [unrolled: 1-line block ×4, first 2 shown]
	s_add_i32 s74, s74, s4
	v_mov_b32_e32 v23, 0
	v_mov_b32_e32 v22, 0
	;; [unrolled: 1-line block ×45, first 2 shown]
	s_mov_b32 s76, 0
	v_mov_b32_e32 v107, v106
	v_mov_b32_e32 v108, v105
	;; [unrolled: 1-line block ×4, first 2 shown]
.LBB6_1:                                ; =>This Inner Loop Header: Depth=1
	v_mul_hi_u32 v0, s55, v110
	v_add_u32_e32 v114, s47, v103
	v_mul_hi_u32 v2, s55, v109
	v_add_u32_e32 v88, s47, v104
	v_add_u32_e32 v3, v102, v99
	v_add_u32_e32 v0, v114, v0
	v_add_u32_e32 v4, v101, v99
	v_add_u32_e32 v2, v88, v2
	buffer_load_dwordx4 v[12:15], v3, s[36:39], 0 offen
	buffer_load_dwordx4 v[8:11], v4, s[36:39], 0 offen
	v_lshrrev_b32_e32 v3, s57, v0
	v_lshrrev_b32_e32 v4, s57, v2
	v_mul_lo_u32 v0, s73, v3
	v_mul_hi_u32 v2, v3, s54
	v_mul_hi_u32 v5, v4, s54
	v_sub_u32_e32 v1, v0, v1
	v_mad_u64_u32 v[86:87], s[4:5], s73, v4, v[88:89]
	v_add_u32_e32 v2, v3, v2
	v_add_u32_e32 v0, v114, v0
	;; [unrolled: 1-line block ×4, first 2 shown]
	v_lshrrev_b32_e32 v2, s56, v2
	v_lshrrev_b32_e32 v83, s56, v5
	v_sub_u32_e32 v5, v86, v0
	v_mad_u64_u32 v[0:1], s[4:5], v1, s27, v[80:81]
	v_mul_lo_u32 v1, v2, s52
	v_mul_lo_u32 v7, v83, s52
	v_sub_u32_e32 v1, v3, v1
	v_sub_u32_e32 v6, v2, v111
	;; [unrolled: 1-line block ×5, first 2 shown]
	v_mul_lo_u32 v2, v5, s27
	v_mul_lo_u32 v111, v6, s65
	;; [unrolled: 1-line block ×3, first 2 shown]
	v_sub_u32_e32 v1, v113, v1
	v_mul_lo_u32 v112, v4, s66
	v_mul_lo_u32 v5, v111, s25
	v_mad_u64_u32 v[2:3], s[4:5], v115, s25, v[2:3]
	v_mul_lo_u32 v80, v1, s66
	v_mul_lo_u32 v1, v112, s26
	;; [unrolled: 1-line block ×3, first 2 shown]
	v_add3_u32 v0, v0, v5, v1
	v_add3_u32 v116, v2, v0, v3
	v_lshlrev_b32_e32 v0, 1, v0
	v_lshlrev_b32_e32 v4, 1, v116
	buffer_load_dwordx4 v[0:3], v0, s[28:31], 0 offen
	s_nop 0
	buffer_load_dwordx4 v[4:7], v4, s[28:31], 0 offen
	s_waitcnt lgkmcnt(0)
	s_barrier
	ds_read_b128 v[118:121], v90
	ds_read_b128 v[122:125], v91 offset:16384
	ds_read_b128 v[126:129], v91 offset:16640
	v_mul_hi_u32 v87, s55, v108
	v_add_u32_e32 v84, s47, v105
	v_add_u32_e32 v87, v84, v87
	s_waitcnt lgkmcnt(1)
	v_dot2c_f32_f16_e32 v78, v118, v122
	v_dot2c_f32_f16_e32 v79, v118, v123
	v_dot2c_f32_f16_e32 v76, v118, v124
	v_dot2c_f32_f16_e32 v77, v118, v125
	v_dot2c_f32_f16_e32 v66, v119, v122
	v_dot2c_f32_f16_e32 v67, v119, v123
	v_dot2c_f32_f16_e32 v64, v119, v124
	v_dot2c_f32_f16_e32 v65, v119, v125
	v_dot2c_f32_f16_e32 v62, v120, v122
	v_dot2c_f32_f16_e32 v63, v120, v123
	v_dot2c_f32_f16_e32 v60, v120, v124
	v_dot2c_f32_f16_e32 v61, v120, v125
	v_dot2c_f32_f16_e32 v50, v121, v122
	v_dot2c_f32_f16_e32 v51, v121, v123
	v_dot2c_f32_f16_e32 v48, v121, v124
	v_dot2c_f32_f16_e32 v49, v121, v125
	s_waitcnt lgkmcnt(0)
	v_dot2c_f32_f16_e32 v74, v118, v126
	v_dot2c_f32_f16_e32 v75, v118, v127
	;; [unrolled: 1-line block ×16, first 2 shown]
	ds_read_b128 v[118:121], v90 offset:256
	v_lshrrev_b32_e32 v117, s57, v87
	v_mul_hi_u32 v87, s55, v107
	v_cmp_gt_i32_e64 s[6:7], s64, v114
	s_add_i32 s76, s76, 32
	s_waitcnt lgkmcnt(0)
	v_dot2c_f32_f16_e32 v18, v118, v122
	v_dot2c_f32_f16_e32 v19, v118, v123
	;; [unrolled: 1-line block ×32, first 2 shown]
	ds_read_b128 v[118:121], v90 offset:512
	ds_read_b128 v[122:125], v91 offset:16896
	;; [unrolled: 1-line block ×3, first 2 shown]
	v_add_u32_e32 v110, s72, v110
	v_add_u32_e32 v109, s72, v109
	;; [unrolled: 1-line block ×3, first 2 shown]
	s_waitcnt lgkmcnt(1)
	v_dot2c_f32_f16_e32 v78, v118, v122
	v_dot2c_f32_f16_e32 v79, v118, v123
	;; [unrolled: 1-line block ×16, first 2 shown]
	s_waitcnt lgkmcnt(0)
	v_dot2c_f32_f16_e32 v74, v118, v126
	v_dot2c_f32_f16_e32 v75, v118, v127
	;; [unrolled: 1-line block ×16, first 2 shown]
	ds_read_b128 v[118:121], v90 offset:768
	v_add_u32_e32 v107, s72, v107
	s_waitcnt lgkmcnt(0)
	v_dot2c_f32_f16_e32 v18, v118, v122
	v_dot2c_f32_f16_e32 v19, v118, v123
	;; [unrolled: 1-line block ×32, first 2 shown]
	ds_read_b128 v[118:121], v90 offset:1024
	ds_read_b128 v[122:125], v91 offset:17408
	;; [unrolled: 1-line block ×3, first 2 shown]
	s_waitcnt lgkmcnt(1)
	v_dot2c_f32_f16_e32 v78, v118, v122
	v_dot2c_f32_f16_e32 v79, v118, v123
	;; [unrolled: 1-line block ×16, first 2 shown]
	s_waitcnt lgkmcnt(0)
	v_dot2c_f32_f16_e32 v74, v118, v126
	v_dot2c_f32_f16_e32 v75, v118, v127
	;; [unrolled: 1-line block ×16, first 2 shown]
	ds_read_b128 v[118:121], v90 offset:1280
	s_waitcnt lgkmcnt(0)
	v_dot2c_f32_f16_e32 v18, v118, v122
	v_dot2c_f32_f16_e32 v19, v118, v123
	;; [unrolled: 1-line block ×32, first 2 shown]
	ds_read_b128 v[118:121], v90 offset:1536
	ds_read_b128 v[122:125], v91 offset:17920
	;; [unrolled: 1-line block ×3, first 2 shown]
	s_waitcnt lgkmcnt(1)
	v_dot2c_f32_f16_e32 v78, v118, v122
	v_dot2c_f32_f16_e32 v79, v118, v123
	;; [unrolled: 1-line block ×16, first 2 shown]
	s_waitcnt lgkmcnt(0)
	v_dot2c_f32_f16_e32 v74, v118, v126
	v_dot2c_f32_f16_e32 v75, v118, v127
	v_dot2c_f32_f16_e32 v72, v118, v128
	v_dot2c_f32_f16_e32 v73, v118, v129
	v_dot2c_f32_f16_e32 v70, v119, v126
	v_dot2c_f32_f16_e32 v71, v119, v127
	v_dot2c_f32_f16_e32 v68, v119, v128
	v_dot2c_f32_f16_e32 v69, v119, v129
	v_dot2c_f32_f16_e32 v58, v120, v126
	v_dot2c_f32_f16_e32 v59, v120, v127
	v_dot2c_f32_f16_e32 v56, v120, v128
	v_dot2c_f32_f16_e32 v57, v120, v129
	v_dot2c_f32_f16_e32 v54, v121, v126
	v_dot2c_f32_f16_e32 v55, v121, v127
	v_dot2c_f32_f16_e32 v52, v121, v128
	v_dot2c_f32_f16_e32 v53, v121, v129
	ds_read_b128 v[118:121], v90 offset:1792
	s_waitcnt lgkmcnt(0)
	v_dot2c_f32_f16_e32 v18, v118, v122
	v_dot2c_f32_f16_e32 v19, v118, v123
	;; [unrolled: 1-line block ×32, first 2 shown]
	ds_read_b128 v[118:121], v90 offset:2048
	ds_read_b128 v[122:125], v91 offset:18432
	;; [unrolled: 1-line block ×3, first 2 shown]
	s_waitcnt lgkmcnt(1)
	v_dot2c_f32_f16_e32 v78, v118, v122
	v_dot2c_f32_f16_e32 v79, v118, v123
	;; [unrolled: 1-line block ×16, first 2 shown]
	s_waitcnt lgkmcnt(0)
	v_dot2c_f32_f16_e32 v74, v118, v126
	v_dot2c_f32_f16_e32 v75, v118, v127
	;; [unrolled: 1-line block ×16, first 2 shown]
	ds_read_b128 v[118:121], v90 offset:2304
	s_waitcnt lgkmcnt(0)
	v_dot2c_f32_f16_e32 v18, v118, v122
	v_dot2c_f32_f16_e32 v19, v118, v123
	;; [unrolled: 1-line block ×32, first 2 shown]
	ds_read_b128 v[118:121], v90 offset:2560
	ds_read_b128 v[122:125], v91 offset:18944
	;; [unrolled: 1-line block ×3, first 2 shown]
	s_waitcnt lgkmcnt(1)
	v_dot2c_f32_f16_e32 v78, v118, v122
	v_dot2c_f32_f16_e32 v79, v118, v123
	;; [unrolled: 1-line block ×16, first 2 shown]
	s_waitcnt lgkmcnt(0)
	v_dot2c_f32_f16_e32 v74, v118, v126
	v_dot2c_f32_f16_e32 v75, v118, v127
	;; [unrolled: 1-line block ×16, first 2 shown]
	ds_read_b128 v[118:121], v90 offset:2816
	s_waitcnt lgkmcnt(0)
	v_dot2c_f32_f16_e32 v18, v118, v122
	v_dot2c_f32_f16_e32 v19, v118, v123
	;; [unrolled: 1-line block ×32, first 2 shown]
	ds_read_b128 v[118:121], v90 offset:3072
	ds_read_b128 v[122:125], v91 offset:19456
	;; [unrolled: 1-line block ×3, first 2 shown]
	s_waitcnt lgkmcnt(1)
	v_dot2c_f32_f16_e32 v78, v118, v122
	v_dot2c_f32_f16_e32 v79, v118, v123
	;; [unrolled: 1-line block ×16, first 2 shown]
	s_waitcnt lgkmcnt(0)
	v_dot2c_f32_f16_e32 v74, v118, v126
	v_dot2c_f32_f16_e32 v75, v118, v127
	;; [unrolled: 1-line block ×16, first 2 shown]
	ds_read_b128 v[118:121], v90 offset:3328
	s_waitcnt lgkmcnt(0)
	v_dot2c_f32_f16_e32 v18, v118, v122
	v_dot2c_f32_f16_e32 v19, v118, v123
	;; [unrolled: 1-line block ×32, first 2 shown]
	ds_read_b128 v[118:121], v90 offset:3584
	ds_read_b128 v[122:125], v91 offset:19968
	ds_read_b128 v[126:129], v91 offset:20224
	s_waitcnt lgkmcnt(1)
	v_dot2c_f32_f16_e32 v78, v118, v122
	v_dot2c_f32_f16_e32 v79, v118, v123
	;; [unrolled: 1-line block ×16, first 2 shown]
	s_waitcnt lgkmcnt(0)
	v_dot2c_f32_f16_e32 v74, v118, v126
	v_dot2c_f32_f16_e32 v75, v118, v127
	v_dot2c_f32_f16_e32 v72, v118, v128
	v_dot2c_f32_f16_e32 v73, v118, v129
	v_dot2c_f32_f16_e32 v70, v119, v126
	v_dot2c_f32_f16_e32 v71, v119, v127
	v_dot2c_f32_f16_e32 v68, v119, v128
	v_dot2c_f32_f16_e32 v69, v119, v129
	v_dot2c_f32_f16_e32 v58, v120, v126
	v_dot2c_f32_f16_e32 v59, v120, v127
	v_dot2c_f32_f16_e32 v56, v120, v128
	v_dot2c_f32_f16_e32 v57, v120, v129
	v_dot2c_f32_f16_e32 v54, v121, v126
	v_dot2c_f32_f16_e32 v55, v121, v127
	v_dot2c_f32_f16_e32 v52, v121, v128
	v_dot2c_f32_f16_e32 v53, v121, v129
	ds_read_b128 v[118:121], v90 offset:3840
	s_waitcnt lgkmcnt(0)
	v_dot2c_f32_f16_e32 v18, v118, v122
	v_dot2c_f32_f16_e32 v19, v118, v123
	;; [unrolled: 1-line block ×32, first 2 shown]
	ds_read_b128 v[118:121], v90 offset:4096
	ds_read_b128 v[122:125], v91 offset:20480
	;; [unrolled: 1-line block ×3, first 2 shown]
	s_waitcnt lgkmcnt(1)
	v_dot2c_f32_f16_e32 v78, v118, v122
	v_dot2c_f32_f16_e32 v79, v118, v123
	v_dot2c_f32_f16_e32 v76, v118, v124
	v_dot2c_f32_f16_e32 v77, v118, v125
	v_dot2c_f32_f16_e32 v66, v119, v122
	v_dot2c_f32_f16_e32 v67, v119, v123
	v_dot2c_f32_f16_e32 v64, v119, v124
	v_dot2c_f32_f16_e32 v65, v119, v125
	v_dot2c_f32_f16_e32 v62, v120, v122
	v_dot2c_f32_f16_e32 v63, v120, v123
	v_dot2c_f32_f16_e32 v60, v120, v124
	v_dot2c_f32_f16_e32 v61, v120, v125
	v_dot2c_f32_f16_e32 v50, v121, v122
	v_dot2c_f32_f16_e32 v51, v121, v123
	v_dot2c_f32_f16_e32 v48, v121, v124
	v_dot2c_f32_f16_e32 v49, v121, v125
	s_waitcnt lgkmcnt(0)
	v_dot2c_f32_f16_e32 v74, v118, v126
	v_dot2c_f32_f16_e32 v75, v118, v127
	;; [unrolled: 1-line block ×16, first 2 shown]
	ds_read_b128 v[118:121], v90 offset:4352
	s_waitcnt lgkmcnt(0)
	v_dot2c_f32_f16_e32 v18, v118, v122
	v_dot2c_f32_f16_e32 v19, v118, v123
	;; [unrolled: 1-line block ×32, first 2 shown]
	ds_read_b128 v[118:121], v90 offset:4608
	ds_read_b128 v[122:125], v91 offset:20992
	;; [unrolled: 1-line block ×3, first 2 shown]
	s_waitcnt lgkmcnt(1)
	v_dot2c_f32_f16_e32 v78, v118, v122
	v_dot2c_f32_f16_e32 v79, v118, v123
	;; [unrolled: 1-line block ×16, first 2 shown]
	s_waitcnt lgkmcnt(0)
	v_dot2c_f32_f16_e32 v74, v118, v126
	v_dot2c_f32_f16_e32 v75, v118, v127
	v_dot2c_f32_f16_e32 v72, v118, v128
	v_dot2c_f32_f16_e32 v73, v118, v129
	v_dot2c_f32_f16_e32 v70, v119, v126
	v_dot2c_f32_f16_e32 v71, v119, v127
	v_dot2c_f32_f16_e32 v68, v119, v128
	v_dot2c_f32_f16_e32 v69, v119, v129
	v_dot2c_f32_f16_e32 v58, v120, v126
	v_dot2c_f32_f16_e32 v59, v120, v127
	v_dot2c_f32_f16_e32 v56, v120, v128
	v_dot2c_f32_f16_e32 v57, v120, v129
	v_dot2c_f32_f16_e32 v54, v121, v126
	v_dot2c_f32_f16_e32 v55, v121, v127
	v_dot2c_f32_f16_e32 v52, v121, v128
	v_dot2c_f32_f16_e32 v53, v121, v129
	ds_read_b128 v[118:121], v90 offset:4864
	s_waitcnt lgkmcnt(0)
	v_dot2c_f32_f16_e32 v18, v118, v122
	v_dot2c_f32_f16_e32 v19, v118, v123
	;; [unrolled: 1-line block ×32, first 2 shown]
	ds_read_b128 v[118:121], v90 offset:5120
	ds_read_b128 v[122:125], v91 offset:21504
	;; [unrolled: 1-line block ×3, first 2 shown]
	s_waitcnt lgkmcnt(1)
	v_dot2c_f32_f16_e32 v78, v118, v122
	v_dot2c_f32_f16_e32 v79, v118, v123
	;; [unrolled: 1-line block ×16, first 2 shown]
	s_waitcnt lgkmcnt(0)
	v_dot2c_f32_f16_e32 v74, v118, v126
	v_dot2c_f32_f16_e32 v75, v118, v127
	v_dot2c_f32_f16_e32 v72, v118, v128
	v_dot2c_f32_f16_e32 v73, v118, v129
	v_dot2c_f32_f16_e32 v70, v119, v126
	v_dot2c_f32_f16_e32 v71, v119, v127
	v_dot2c_f32_f16_e32 v68, v119, v128
	v_dot2c_f32_f16_e32 v69, v119, v129
	v_dot2c_f32_f16_e32 v58, v120, v126
	v_dot2c_f32_f16_e32 v59, v120, v127
	v_dot2c_f32_f16_e32 v56, v120, v128
	v_dot2c_f32_f16_e32 v57, v120, v129
	v_dot2c_f32_f16_e32 v54, v121, v126
	v_dot2c_f32_f16_e32 v55, v121, v127
	v_dot2c_f32_f16_e32 v52, v121, v128
	v_dot2c_f32_f16_e32 v53, v121, v129
	ds_read_b128 v[118:121], v90 offset:5376
	s_waitcnt lgkmcnt(0)
	v_dot2c_f32_f16_e32 v18, v118, v122
	v_dot2c_f32_f16_e32 v19, v118, v123
	v_dot2c_f32_f16_e32 v16, v118, v124
	v_dot2c_f32_f16_e32 v17, v118, v125
	v_dot2c_f32_f16_e32 v30, v119, v122
	v_dot2c_f32_f16_e32 v31, v119, v123
	v_dot2c_f32_f16_e32 v28, v119, v124
	v_dot2c_f32_f16_e32 v29, v119, v125
	v_dot2c_f32_f16_e32 v34, v120, v122
	v_dot2c_f32_f16_e32 v35, v120, v123
	v_dot2c_f32_f16_e32 v32, v120, v124
	v_dot2c_f32_f16_e32 v33, v120, v125
	v_dot2c_f32_f16_e32 v40, v121, v122
	v_dot2c_f32_f16_e32 v41, v121, v123
	v_dot2c_f32_f16_e32 v46, v121, v124
	v_dot2c_f32_f16_e32 v47, v121, v125
	v_dot2c_f32_f16_e32 v22, v118, v126
	v_dot2c_f32_f16_e32 v23, v118, v127
	v_dot2c_f32_f16_e32 v20, v118, v128
	v_dot2c_f32_f16_e32 v21, v118, v129
	v_dot2c_f32_f16_e32 v26, v119, v126
	v_dot2c_f32_f16_e32 v27, v119, v127
	v_dot2c_f32_f16_e32 v24, v119, v128
	v_dot2c_f32_f16_e32 v25, v119, v129
	v_dot2c_f32_f16_e32 v38, v120, v126
	v_dot2c_f32_f16_e32 v39, v120, v127
	v_dot2c_f32_f16_e32 v36, v120, v128
	v_dot2c_f32_f16_e32 v37, v120, v129
	v_dot2c_f32_f16_e32 v44, v121, v126
	v_dot2c_f32_f16_e32 v45, v121, v127
	v_dot2c_f32_f16_e32 v42, v121, v128
	v_dot2c_f32_f16_e32 v43, v121, v129
	ds_read_b128 v[118:121], v90 offset:5632
	ds_read_b128 v[122:125], v91 offset:22016
	ds_read_b128 v[126:129], v91 offset:22272
	s_waitcnt lgkmcnt(1)
	v_dot2c_f32_f16_e32 v78, v118, v122
	v_dot2c_f32_f16_e32 v79, v118, v123
	;; [unrolled: 1-line block ×16, first 2 shown]
	s_waitcnt lgkmcnt(0)
	v_dot2c_f32_f16_e32 v74, v118, v126
	v_dot2c_f32_f16_e32 v75, v118, v127
	;; [unrolled: 1-line block ×16, first 2 shown]
	ds_read_b128 v[118:121], v90 offset:5888
	s_waitcnt lgkmcnt(0)
	v_dot2c_f32_f16_e32 v18, v118, v122
	v_dot2c_f32_f16_e32 v19, v118, v123
	;; [unrolled: 1-line block ×32, first 2 shown]
	ds_read_b128 v[118:121], v90 offset:6144
	ds_read_b128 v[122:125], v91 offset:22528
	;; [unrolled: 1-line block ×3, first 2 shown]
	s_waitcnt lgkmcnt(1)
	v_dot2c_f32_f16_e32 v78, v118, v122
	v_dot2c_f32_f16_e32 v79, v118, v123
	;; [unrolled: 1-line block ×16, first 2 shown]
	s_waitcnt lgkmcnt(0)
	v_dot2c_f32_f16_e32 v74, v118, v126
	v_dot2c_f32_f16_e32 v75, v118, v127
	;; [unrolled: 1-line block ×16, first 2 shown]
	ds_read_b128 v[118:121], v90 offset:6400
	s_waitcnt lgkmcnt(0)
	v_dot2c_f32_f16_e32 v18, v118, v122
	v_dot2c_f32_f16_e32 v19, v118, v123
	;; [unrolled: 1-line block ×32, first 2 shown]
	ds_read_b128 v[118:121], v90 offset:6656
	ds_read_b128 v[122:125], v91 offset:23040
	;; [unrolled: 1-line block ×3, first 2 shown]
	s_waitcnt lgkmcnt(1)
	v_dot2c_f32_f16_e32 v78, v118, v122
	v_dot2c_f32_f16_e32 v79, v118, v123
	;; [unrolled: 1-line block ×16, first 2 shown]
	s_waitcnt lgkmcnt(0)
	v_dot2c_f32_f16_e32 v74, v118, v126
	v_dot2c_f32_f16_e32 v75, v118, v127
	;; [unrolled: 1-line block ×16, first 2 shown]
	ds_read_b128 v[118:121], v90 offset:6912
	s_waitcnt lgkmcnt(0)
	v_dot2c_f32_f16_e32 v18, v118, v122
	v_dot2c_f32_f16_e32 v19, v118, v123
	;; [unrolled: 1-line block ×32, first 2 shown]
	ds_read_b128 v[118:121], v90 offset:7168
	ds_read_b128 v[122:125], v91 offset:23552
	;; [unrolled: 1-line block ×3, first 2 shown]
	s_waitcnt lgkmcnt(1)
	v_dot2c_f32_f16_e32 v78, v118, v122
	v_dot2c_f32_f16_e32 v79, v118, v123
	;; [unrolled: 1-line block ×16, first 2 shown]
	s_waitcnt lgkmcnt(0)
	v_dot2c_f32_f16_e32 v74, v118, v126
	v_dot2c_f32_f16_e32 v75, v118, v127
	;; [unrolled: 1-line block ×16, first 2 shown]
	ds_read_b128 v[118:121], v90 offset:7424
	s_waitcnt lgkmcnt(0)
	v_dot2c_f32_f16_e32 v18, v118, v122
	v_dot2c_f32_f16_e32 v19, v118, v123
	;; [unrolled: 1-line block ×32, first 2 shown]
	ds_read_b128 v[118:121], v90 offset:7680
	ds_read_b128 v[122:125], v91 offset:24064
	;; [unrolled: 1-line block ×3, first 2 shown]
	s_waitcnt lgkmcnt(1)
	v_dot2c_f32_f16_e32 v78, v118, v122
	v_dot2c_f32_f16_e32 v79, v118, v123
	;; [unrolled: 1-line block ×16, first 2 shown]
	s_waitcnt lgkmcnt(0)
	v_dot2c_f32_f16_e32 v74, v118, v126
	v_dot2c_f32_f16_e32 v75, v118, v127
	;; [unrolled: 1-line block ×16, first 2 shown]
	ds_read_b128 v[118:121], v90 offset:7936
	s_waitcnt lgkmcnt(0)
	v_dot2c_f32_f16_e32 v18, v118, v122
	v_dot2c_f32_f16_e32 v19, v118, v123
	;; [unrolled: 1-line block ×16, first 2 shown]
	v_mad_u64_u32 v[118:119], s[4:5], s73, v117, v[84:85]
	v_sub_u32_e32 v119, v118, v86
	v_add_u32_e32 v86, s47, v106
	v_add_u32_e32 v87, v86, v87
	v_lshrrev_b32_e32 v87, s57, v87
	v_dot2c_f32_f16_e32 v34, v120, v122
	v_dot2c_f32_f16_e32 v35, v120, v123
	;; [unrolled: 1-line block ×16, first 2 shown]
	v_mad_u64_u32 v[120:121], s[4:5], s73, v87, v[86:87]
	v_sub_u32_e32 v120, v120, v118
	v_mul_hi_u32 v118, v117, s54
	v_add_u32_e32 v118, v117, v118
	v_lshrrev_b32_e32 v121, s56, v118
	v_mul_lo_u32 v118, v121, s52
	v_sub_u32_e32 v117, v117, v118
	v_sub_u32_e32 v83, v121, v83
	v_mul_lo_u32 v83, v83, s65
	v_sub_u32_e32 v113, v117, v113
	v_mul_lo_u32 v118, v119, s27
	v_mad_u64_u32 v[118:119], s[4:5], v83, s25, v[118:119]
	v_mul_lo_u32 v113, v113, s66
	v_mul_lo_u32 v119, v113, s26
	v_add3_u32 v116, v118, v119, v116
	v_add_u32_e32 v118, s75, v97
	v_cmp_gt_i32_e64 s[4:5], s63, v118
	s_and_b64 s[4:5], s[2:3], s[4:5]
	v_add_u32_e32 v118, s75, v96
	s_waitcnt vmcnt(3)
	v_cndmask_b32_e64 v15, 0, v15, s[4:5]
	v_cndmask_b32_e64 v14, 0, v14, s[4:5]
	;; [unrolled: 1-line block ×4, first 2 shown]
	v_cmp_gt_i32_e64 s[4:5], s63, v118
	s_and_b64 s[4:5], s[2:3], s[4:5]
	ds_write2st64_b32 v93, v12, v13 offset0:96 offset1:98
	s_waitcnt vmcnt(2)
	v_cndmask_b32_e64 v118, 0, v11, s[4:5]
	v_cndmask_b32_e64 v11, 0, v8, s[4:5]
	v_mul_hi_u32 v8, v87, s54
	v_cndmask_b32_e64 v119, 0, v10, s[4:5]
	v_cndmask_b32_e64 v10, 0, v9, s[4:5]
	v_add_u32_e32 v9, v111, v82
	v_add_u32_e32 v12, v87, v8
	v_cmp_gt_i32_e64 s[4:5], s64, v88
	v_add_u32_e32 v122, v112, v81
	v_lshrrev_b32_e32 v111, s56, v12
	v_cmp_le_i32_e64 s[8:9], s59, v9
	v_cmp_gt_i32_e64 s[10:11], s42, v9
	v_add_u32_e32 v88, v115, v9
	v_mul_lo_u32 v8, v120, s27
	v_sub_u32_e32 v82, v111, v121
	v_mul_lo_u32 v9, v111, s52
	v_add_u32_e32 v114, v80, v122
	s_and_b64 s[16:17], s[8:9], s[10:11]
	v_cmp_le_i32_e64 s[8:9], s59, v88
	v_cmp_gt_i32_e64 s[10:11], s42, v88
	v_sub_u32_e32 v112, v87, v9
	v_mad_u64_u32 v[8:9], s[12:13], v82, s69, v[8:9]
	v_cmp_gt_i32_e64 s[14:15], s40, v122
	s_and_b64 s[10:11], s[8:9], s[10:11]
	v_cmp_gt_i32_e64 s[8:9], s40, v114
	v_cmp_le_i32_e64 s[12:13], s60, v122
	s_and_b64 s[14:15], s[14:15], s[6:7]
	v_cmp_le_i32_e64 s[6:7], s60, v114
	s_and_b64 s[4:5], s[8:9], s[4:5]
	s_and_b64 s[12:13], s[14:15], s[12:13]
	s_and_b64 s[6:7], s[4:5], s[6:7]
	v_sub_u32_e32 v81, v112, v117
	s_and_b64 s[8:9], s[16:17], s[12:13]
	s_and_b64 s[6:7], s[10:11], s[6:7]
	v_mul_lo_u32 v9, v81, s68
	s_and_b64 s[4:5], vcc, s[8:9]
	s_and_b64 s[6:7], vcc, s[6:7]
	v_add_u32_e32 v123, v100, v99
	v_add3_u32 v80, v8, v9, v116
	v_add_u32_e32 v12, v98, v99
	v_lshlrev_b32_e32 v115, 1, v116
	ds_write2st64_b32 v93, v14, v15 offset0:100 offset1:102
	ds_write2st64_b32 v93, v11, v10 offset0:104 offset1:106
	;; [unrolled: 1-line block ×3, first 2 shown]
	s_waitcnt vmcnt(1)
	v_cndmask_b32_e64 v3, 0, v3, s[4:5]
	v_cndmask_b32_e64 v2, 0, v2, s[4:5]
	;; [unrolled: 1-line block ×4, first 2 shown]
	s_waitcnt vmcnt(0)
	v_cndmask_b32_e64 v118, 0, v5, s[6:7]
	v_cndmask_b32_e64 v119, 0, v4, s[6:7]
	buffer_load_dwordx4 v[8:11], v123, s[36:39], 0 offen
	v_cndmask_b32_e64 v116, 0, v7, s[6:7]
	v_cndmask_b32_e64 v117, 0, v6, s[6:7]
	buffer_load_dwordx4 v[12:15], v12, s[36:39], 0 offen
	ds_write2st64_b32 v93, v0, v1 offset0:32 offset1:34
	v_lshlrev_b32_e32 v0, 1, v80
	ds_write2st64_b32 v93, v2, v3 offset0:36 offset1:38
	buffer_load_dwordx4 v[4:7], v115, s[28:31], 0 offen
	ds_write2st64_b32 v93, v119, v118 offset0:40 offset1:42
	ds_write2st64_b32 v93, v117, v116 offset0:44 offset1:46
	buffer_load_dwordx4 v[0:3], v0, s[28:31], 0 offen
	s_waitcnt lgkmcnt(0)
	s_barrier
	ds_read_b128 v[116:119], v90 offset:8192
	ds_read_b128 v[120:123], v91 offset:24576
	;; [unrolled: 1-line block ×3, first 2 shown]
	v_cmp_gt_i32_e64 s[8:9], s64, v84
	v_add_u32_e32 v84, v83, v88
	v_cmp_le_i32_e64 s[12:13], s59, v84
	s_waitcnt lgkmcnt(1)
	v_dot2c_f32_f16_e32 v78, v116, v120
	v_dot2c_f32_f16_e32 v79, v116, v121
	;; [unrolled: 1-line block ×16, first 2 shown]
	s_waitcnt lgkmcnt(0)
	v_dot2c_f32_f16_e32 v74, v116, v124
	v_dot2c_f32_f16_e32 v75, v116, v125
	;; [unrolled: 1-line block ×16, first 2 shown]
	ds_read_b128 v[116:119], v90 offset:8448
	v_cmp_gt_i32_e64 s[14:15], s42, v84
	v_mad_u64_u32 v[82:83], s[16:17], v82, s65, v[84:85]
	v_add_u32_e32 v84, v113, v114
	s_waitcnt lgkmcnt(0)
	v_dot2c_f32_f16_e32 v18, v116, v120
	v_dot2c_f32_f16_e32 v19, v116, v121
	v_dot2c_f32_f16_e32 v16, v116, v122
	v_dot2c_f32_f16_e32 v17, v116, v123
	v_dot2c_f32_f16_e32 v30, v117, v120
	v_dot2c_f32_f16_e32 v31, v117, v121
	v_dot2c_f32_f16_e32 v28, v117, v122
	v_dot2c_f32_f16_e32 v29, v117, v123
	v_dot2c_f32_f16_e32 v34, v118, v120
	v_dot2c_f32_f16_e32 v35, v118, v121
	v_dot2c_f32_f16_e32 v32, v118, v122
	v_dot2c_f32_f16_e32 v33, v118, v123
	v_dot2c_f32_f16_e32 v40, v119, v120
	v_dot2c_f32_f16_e32 v41, v119, v121
	v_dot2c_f32_f16_e32 v46, v119, v122
	v_dot2c_f32_f16_e32 v47, v119, v123
	v_dot2c_f32_f16_e32 v22, v116, v124
	v_dot2c_f32_f16_e32 v23, v116, v125
	v_dot2c_f32_f16_e32 v20, v116, v126
	v_dot2c_f32_f16_e32 v21, v116, v127
	v_dot2c_f32_f16_e32 v26, v117, v124
	v_dot2c_f32_f16_e32 v27, v117, v125
	v_dot2c_f32_f16_e32 v24, v117, v126
	v_dot2c_f32_f16_e32 v25, v117, v127
	v_dot2c_f32_f16_e32 v38, v118, v124
	v_dot2c_f32_f16_e32 v39, v118, v125
	v_dot2c_f32_f16_e32 v36, v118, v126
	v_dot2c_f32_f16_e32 v37, v118, v127
	v_dot2c_f32_f16_e32 v44, v119, v124
	v_dot2c_f32_f16_e32 v45, v119, v125
	v_dot2c_f32_f16_e32 v42, v119, v126
	v_dot2c_f32_f16_e32 v43, v119, v127
	ds_read_b128 v[116:119], v90 offset:8704
	ds_read_b128 v[120:123], v91 offset:25088
	;; [unrolled: 1-line block ×3, first 2 shown]
	s_and_b64 s[78:79], s[12:13], s[14:15]
	v_cmp_le_i32_e64 s[12:13], s59, v82
	v_cmp_gt_i32_e64 s[14:15], s42, v82
	s_waitcnt lgkmcnt(1)
	v_dot2c_f32_f16_e32 v78, v116, v120
	v_dot2c_f32_f16_e32 v79, v116, v121
	;; [unrolled: 1-line block ×16, first 2 shown]
	s_waitcnt lgkmcnt(0)
	v_dot2c_f32_f16_e32 v74, v116, v124
	v_dot2c_f32_f16_e32 v75, v116, v125
	;; [unrolled: 1-line block ×16, first 2 shown]
	ds_read_b128 v[116:119], v90 offset:8960
	v_cmp_gt_i32_e64 s[10:11], s64, v86
	v_cmp_gt_i32_e64 s[18:19], s40, v84
	s_and_b64 s[14:15], s[12:13], s[14:15]
	v_add_u32_e32 v115, s75, v95
	s_waitcnt lgkmcnt(0)
	v_dot2c_f32_f16_e32 v18, v116, v120
	v_dot2c_f32_f16_e32 v19, v116, v121
	v_dot2c_f32_f16_e32 v16, v116, v122
	v_dot2c_f32_f16_e32 v17, v116, v123
	v_dot2c_f32_f16_e32 v30, v117, v120
	v_dot2c_f32_f16_e32 v31, v117, v121
	v_dot2c_f32_f16_e32 v28, v117, v122
	v_dot2c_f32_f16_e32 v29, v117, v123
	v_dot2c_f32_f16_e32 v34, v118, v120
	v_dot2c_f32_f16_e32 v35, v118, v121
	v_dot2c_f32_f16_e32 v32, v118, v122
	v_dot2c_f32_f16_e32 v33, v118, v123
	v_dot2c_f32_f16_e32 v40, v119, v120
	v_dot2c_f32_f16_e32 v41, v119, v121
	v_dot2c_f32_f16_e32 v46, v119, v122
	v_dot2c_f32_f16_e32 v47, v119, v123
	v_dot2c_f32_f16_e32 v22, v116, v124
	v_dot2c_f32_f16_e32 v23, v116, v125
	v_dot2c_f32_f16_e32 v20, v116, v126
	v_dot2c_f32_f16_e32 v21, v116, v127
	v_dot2c_f32_f16_e32 v26, v117, v124
	v_dot2c_f32_f16_e32 v27, v117, v125
	v_dot2c_f32_f16_e32 v24, v117, v126
	v_dot2c_f32_f16_e32 v25, v117, v127
	v_dot2c_f32_f16_e32 v38, v118, v124
	v_dot2c_f32_f16_e32 v39, v118, v125
	v_dot2c_f32_f16_e32 v36, v118, v126
	v_dot2c_f32_f16_e32 v37, v118, v127
	v_dot2c_f32_f16_e32 v44, v119, v124
	v_dot2c_f32_f16_e32 v45, v119, v125
	v_dot2c_f32_f16_e32 v42, v119, v126
	v_dot2c_f32_f16_e32 v43, v119, v127
	ds_read_b128 v[116:119], v90 offset:9216
	ds_read_b128 v[120:123], v91 offset:25600
	;; [unrolled: 1-line block ×3, first 2 shown]
	v_cmp_le_i32_e64 s[16:17], s60, v84
	s_and_b64 s[18:19], s[18:19], s[8:9]
	v_cmp_gt_i32_e64 s[4:5], s63, v115
	s_waitcnt lgkmcnt(1)
	v_dot2c_f32_f16_e32 v78, v116, v120
	v_dot2c_f32_f16_e32 v79, v116, v121
	;; [unrolled: 1-line block ×16, first 2 shown]
	s_waitcnt lgkmcnt(0)
	v_dot2c_f32_f16_e32 v74, v116, v124
	v_dot2c_f32_f16_e32 v75, v116, v125
	;; [unrolled: 1-line block ×16, first 2 shown]
	ds_read_b128 v[116:119], v90 offset:9472
	v_add_u32_e32 v115, s75, v94
	s_and_b64 s[16:17], s[18:19], s[16:17]
	v_cmp_gt_i32_e64 s[6:7], s63, v115
	s_and_b64 s[4:5], s[2:3], s[4:5]
	s_waitcnt lgkmcnt(0)
	v_dot2c_f32_f16_e32 v18, v116, v120
	v_dot2c_f32_f16_e32 v19, v116, v121
	;; [unrolled: 1-line block ×32, first 2 shown]
	ds_read_b128 v[116:119], v90 offset:9728
	ds_read_b128 v[120:123], v91 offset:26112
	;; [unrolled: 1-line block ×3, first 2 shown]
	s_and_b64 s[6:7], s[2:3], s[6:7]
	s_waitcnt vmcnt(3)
	v_cndmask_b32_e64 v83, 0, v10, s[4:5]
	v_cndmask_b32_e64 v86, 0, v8, s[4:5]
	s_waitcnt lgkmcnt(1)
	v_dot2c_f32_f16_e32 v78, v116, v120
	v_dot2c_f32_f16_e32 v79, v116, v121
	v_dot2c_f32_f16_e32 v76, v116, v122
	v_dot2c_f32_f16_e32 v77, v116, v123
	v_dot2c_f32_f16_e32 v66, v117, v120
	v_dot2c_f32_f16_e32 v67, v117, v121
	v_dot2c_f32_f16_e32 v64, v117, v122
	v_dot2c_f32_f16_e32 v65, v117, v123
	v_dot2c_f32_f16_e32 v62, v118, v120
	v_dot2c_f32_f16_e32 v63, v118, v121
	v_dot2c_f32_f16_e32 v60, v118, v122
	v_dot2c_f32_f16_e32 v61, v118, v123
	v_dot2c_f32_f16_e32 v50, v119, v120
	v_dot2c_f32_f16_e32 v51, v119, v121
	v_dot2c_f32_f16_e32 v48, v119, v122
	v_dot2c_f32_f16_e32 v49, v119, v123
	s_waitcnt lgkmcnt(0)
	v_dot2c_f32_f16_e32 v74, v116, v124
	v_dot2c_f32_f16_e32 v75, v116, v125
	;; [unrolled: 1-line block ×16, first 2 shown]
	ds_read_b128 v[116:119], v90 offset:9984
	s_waitcnt vmcnt(2)
	v_cndmask_b32_e64 v88, 0, v15, s[6:7]
	v_cndmask_b32_e64 v113, 0, v14, s[6:7]
	s_add_i32 s75, s75, s70
	s_add_i32 s47, s47, s72
	s_waitcnt lgkmcnt(0)
	v_dot2c_f32_f16_e32 v18, v116, v120
	v_dot2c_f32_f16_e32 v19, v116, v121
	;; [unrolled: 1-line block ×32, first 2 shown]
	ds_read_b128 v[116:119], v90 offset:10240
	ds_read_b128 v[120:123], v91 offset:26624
	;; [unrolled: 1-line block ×3, first 2 shown]
	v_add_u32_e32 v99, s71, v99
	s_waitcnt lgkmcnt(1)
	v_dot2c_f32_f16_e32 v78, v116, v120
	v_dot2c_f32_f16_e32 v79, v116, v121
	;; [unrolled: 1-line block ×16, first 2 shown]
	s_waitcnt lgkmcnt(0)
	v_dot2c_f32_f16_e32 v74, v116, v124
	v_dot2c_f32_f16_e32 v75, v116, v125
	;; [unrolled: 1-line block ×16, first 2 shown]
	ds_read_b128 v[116:119], v90 offset:10496
	s_waitcnt lgkmcnt(0)
	v_dot2c_f32_f16_e32 v18, v116, v120
	v_dot2c_f32_f16_e32 v19, v116, v121
	;; [unrolled: 1-line block ×32, first 2 shown]
	ds_read_b128 v[116:119], v90 offset:10752
	ds_read_b128 v[120:123], v91 offset:27136
	;; [unrolled: 1-line block ×3, first 2 shown]
	s_waitcnt lgkmcnt(1)
	v_dot2c_f32_f16_e32 v78, v116, v120
	v_dot2c_f32_f16_e32 v79, v116, v121
	;; [unrolled: 1-line block ×16, first 2 shown]
	s_waitcnt lgkmcnt(0)
	v_dot2c_f32_f16_e32 v74, v116, v124
	v_dot2c_f32_f16_e32 v75, v116, v125
	;; [unrolled: 1-line block ×16, first 2 shown]
	ds_read_b128 v[116:119], v90 offset:11008
	s_waitcnt lgkmcnt(0)
	v_dot2c_f32_f16_e32 v18, v116, v120
	v_dot2c_f32_f16_e32 v19, v116, v121
	;; [unrolled: 1-line block ×32, first 2 shown]
	ds_read_b128 v[116:119], v90 offset:11264
	ds_read_b128 v[120:123], v91 offset:27648
	;; [unrolled: 1-line block ×3, first 2 shown]
	s_waitcnt lgkmcnt(1)
	v_dot2c_f32_f16_e32 v78, v116, v120
	v_dot2c_f32_f16_e32 v79, v116, v121
	;; [unrolled: 1-line block ×16, first 2 shown]
	s_waitcnt lgkmcnt(0)
	v_dot2c_f32_f16_e32 v74, v116, v124
	v_dot2c_f32_f16_e32 v75, v116, v125
	;; [unrolled: 1-line block ×16, first 2 shown]
	ds_read_b128 v[116:119], v90 offset:11520
	s_waitcnt lgkmcnt(0)
	v_dot2c_f32_f16_e32 v18, v116, v120
	v_dot2c_f32_f16_e32 v19, v116, v121
	;; [unrolled: 1-line block ×32, first 2 shown]
	ds_read_b128 v[116:119], v90 offset:11776
	ds_read_b128 v[120:123], v91 offset:28160
	;; [unrolled: 1-line block ×3, first 2 shown]
	s_waitcnt lgkmcnt(1)
	v_dot2c_f32_f16_e32 v78, v116, v120
	v_dot2c_f32_f16_e32 v79, v116, v121
	;; [unrolled: 1-line block ×16, first 2 shown]
	s_waitcnt lgkmcnt(0)
	v_dot2c_f32_f16_e32 v74, v116, v124
	v_dot2c_f32_f16_e32 v75, v116, v125
	;; [unrolled: 1-line block ×16, first 2 shown]
	ds_read_b128 v[116:119], v90 offset:12032
	s_waitcnt lgkmcnt(0)
	v_dot2c_f32_f16_e32 v18, v116, v120
	v_dot2c_f32_f16_e32 v19, v116, v121
	;; [unrolled: 1-line block ×32, first 2 shown]
	ds_read_b128 v[116:119], v90 offset:12288
	ds_read_b128 v[120:123], v91 offset:28672
	;; [unrolled: 1-line block ×3, first 2 shown]
	s_waitcnt lgkmcnt(1)
	v_dot2c_f32_f16_e32 v78, v116, v120
	v_dot2c_f32_f16_e32 v79, v116, v121
	;; [unrolled: 1-line block ×16, first 2 shown]
	s_waitcnt lgkmcnt(0)
	v_dot2c_f32_f16_e32 v74, v116, v124
	v_dot2c_f32_f16_e32 v75, v116, v125
	;; [unrolled: 1-line block ×16, first 2 shown]
	ds_read_b128 v[116:119], v90 offset:12544
	s_waitcnt lgkmcnt(0)
	v_dot2c_f32_f16_e32 v18, v116, v120
	v_dot2c_f32_f16_e32 v19, v116, v121
	v_dot2c_f32_f16_e32 v16, v116, v122
	v_dot2c_f32_f16_e32 v17, v116, v123
	v_dot2c_f32_f16_e32 v30, v117, v120
	v_dot2c_f32_f16_e32 v31, v117, v121
	v_dot2c_f32_f16_e32 v28, v117, v122
	v_dot2c_f32_f16_e32 v29, v117, v123
	v_dot2c_f32_f16_e32 v34, v118, v120
	v_dot2c_f32_f16_e32 v35, v118, v121
	v_dot2c_f32_f16_e32 v32, v118, v122
	v_dot2c_f32_f16_e32 v33, v118, v123
	v_dot2c_f32_f16_e32 v40, v119, v120
	v_dot2c_f32_f16_e32 v41, v119, v121
	v_dot2c_f32_f16_e32 v46, v119, v122
	v_dot2c_f32_f16_e32 v47, v119, v123
	v_dot2c_f32_f16_e32 v22, v116, v124
	v_dot2c_f32_f16_e32 v23, v116, v125
	v_dot2c_f32_f16_e32 v20, v116, v126
	v_dot2c_f32_f16_e32 v21, v116, v127
	v_dot2c_f32_f16_e32 v26, v117, v124
	v_dot2c_f32_f16_e32 v27, v117, v125
	v_dot2c_f32_f16_e32 v24, v117, v126
	v_dot2c_f32_f16_e32 v25, v117, v127
	v_dot2c_f32_f16_e32 v38, v118, v124
	v_dot2c_f32_f16_e32 v39, v118, v125
	v_dot2c_f32_f16_e32 v36, v118, v126
	v_dot2c_f32_f16_e32 v37, v118, v127
	v_dot2c_f32_f16_e32 v44, v119, v124
	v_dot2c_f32_f16_e32 v45, v119, v125
	v_dot2c_f32_f16_e32 v42, v119, v126
	v_dot2c_f32_f16_e32 v43, v119, v127
	ds_read_b128 v[116:119], v90 offset:12800
	ds_read_b128 v[120:123], v91 offset:29184
	;; [unrolled: 1-line block ×3, first 2 shown]
	s_waitcnt lgkmcnt(1)
	v_dot2c_f32_f16_e32 v78, v116, v120
	v_dot2c_f32_f16_e32 v79, v116, v121
	;; [unrolled: 1-line block ×16, first 2 shown]
	s_waitcnt lgkmcnt(0)
	v_dot2c_f32_f16_e32 v74, v116, v124
	v_dot2c_f32_f16_e32 v75, v116, v125
	;; [unrolled: 1-line block ×16, first 2 shown]
	ds_read_b128 v[116:119], v90 offset:13056
	s_waitcnt lgkmcnt(0)
	v_dot2c_f32_f16_e32 v18, v116, v120
	v_dot2c_f32_f16_e32 v19, v116, v121
	;; [unrolled: 1-line block ×32, first 2 shown]
	ds_read_b128 v[116:119], v90 offset:13312
	ds_read_b128 v[120:123], v91 offset:29696
	;; [unrolled: 1-line block ×3, first 2 shown]
	s_waitcnt lgkmcnt(1)
	v_dot2c_f32_f16_e32 v78, v116, v120
	v_dot2c_f32_f16_e32 v79, v116, v121
	;; [unrolled: 1-line block ×16, first 2 shown]
	s_waitcnt lgkmcnt(0)
	v_dot2c_f32_f16_e32 v74, v116, v124
	v_dot2c_f32_f16_e32 v75, v116, v125
	;; [unrolled: 1-line block ×16, first 2 shown]
	ds_read_b128 v[116:119], v90 offset:13568
	s_waitcnt lgkmcnt(0)
	v_dot2c_f32_f16_e32 v18, v116, v120
	v_dot2c_f32_f16_e32 v19, v116, v121
	;; [unrolled: 1-line block ×32, first 2 shown]
	ds_read_b128 v[116:119], v90 offset:13824
	ds_read_b128 v[120:123], v91 offset:30208
	ds_read_b128 v[124:127], v91 offset:30464
	s_waitcnt lgkmcnt(1)
	v_dot2c_f32_f16_e32 v78, v116, v120
	v_dot2c_f32_f16_e32 v79, v116, v121
	;; [unrolled: 1-line block ×16, first 2 shown]
	s_waitcnt lgkmcnt(0)
	v_dot2c_f32_f16_e32 v74, v116, v124
	v_dot2c_f32_f16_e32 v75, v116, v125
	;; [unrolled: 1-line block ×16, first 2 shown]
	ds_read_b128 v[116:119], v90 offset:14080
	s_waitcnt lgkmcnt(0)
	v_dot2c_f32_f16_e32 v18, v116, v120
	v_dot2c_f32_f16_e32 v19, v116, v121
	;; [unrolled: 1-line block ×32, first 2 shown]
	ds_read_b128 v[116:119], v90 offset:14336
	ds_read_b128 v[120:123], v91 offset:30720
	;; [unrolled: 1-line block ×3, first 2 shown]
	s_waitcnt lgkmcnt(1)
	v_dot2c_f32_f16_e32 v78, v116, v120
	v_dot2c_f32_f16_e32 v79, v116, v121
	;; [unrolled: 1-line block ×16, first 2 shown]
	s_waitcnt lgkmcnt(0)
	v_dot2c_f32_f16_e32 v74, v116, v124
	v_dot2c_f32_f16_e32 v75, v116, v125
	;; [unrolled: 1-line block ×16, first 2 shown]
	ds_read_b128 v[116:119], v90 offset:14592
	s_waitcnt lgkmcnt(0)
	v_dot2c_f32_f16_e32 v18, v116, v120
	v_dot2c_f32_f16_e32 v19, v116, v121
	;; [unrolled: 1-line block ×32, first 2 shown]
	ds_read_b128 v[116:119], v90 offset:14848
	ds_read_b128 v[120:123], v91 offset:31232
	;; [unrolled: 1-line block ×3, first 2 shown]
	s_waitcnt lgkmcnt(1)
	v_dot2c_f32_f16_e32 v78, v116, v120
	v_dot2c_f32_f16_e32 v79, v116, v121
	;; [unrolled: 1-line block ×16, first 2 shown]
	s_waitcnt lgkmcnt(0)
	v_dot2c_f32_f16_e32 v74, v116, v124
	v_dot2c_f32_f16_e32 v75, v116, v125
	;; [unrolled: 1-line block ×16, first 2 shown]
	ds_read_b128 v[116:119], v90 offset:15104
	s_waitcnt lgkmcnt(0)
	v_dot2c_f32_f16_e32 v18, v116, v120
	v_dot2c_f32_f16_e32 v19, v116, v121
	;; [unrolled: 1-line block ×32, first 2 shown]
	ds_read_b128 v[116:119], v90 offset:15360
	ds_read_b128 v[120:123], v91 offset:31744
	;; [unrolled: 1-line block ×3, first 2 shown]
	s_waitcnt lgkmcnt(1)
	v_dot2c_f32_f16_e32 v78, v116, v120
	v_dot2c_f32_f16_e32 v79, v116, v121
	v_dot2c_f32_f16_e32 v76, v116, v122
	v_dot2c_f32_f16_e32 v77, v116, v123
	v_dot2c_f32_f16_e32 v66, v117, v120
	v_dot2c_f32_f16_e32 v67, v117, v121
	v_dot2c_f32_f16_e32 v64, v117, v122
	v_dot2c_f32_f16_e32 v65, v117, v123
	v_dot2c_f32_f16_e32 v62, v118, v120
	v_dot2c_f32_f16_e32 v63, v118, v121
	v_dot2c_f32_f16_e32 v60, v118, v122
	v_dot2c_f32_f16_e32 v61, v118, v123
	v_dot2c_f32_f16_e32 v50, v119, v120
	v_dot2c_f32_f16_e32 v51, v119, v121
	v_dot2c_f32_f16_e32 v48, v119, v122
	v_dot2c_f32_f16_e32 v49, v119, v123
	s_waitcnt lgkmcnt(0)
	v_dot2c_f32_f16_e32 v74, v116, v124
	v_dot2c_f32_f16_e32 v75, v116, v125
	;; [unrolled: 1-line block ×16, first 2 shown]
	ds_read_b128 v[116:119], v90 offset:15616
	s_waitcnt lgkmcnt(0)
	v_dot2c_f32_f16_e32 v34, v118, v120
	v_dot2c_f32_f16_e32 v35, v118, v121
	;; [unrolled: 1-line block ×16, first 2 shown]
	v_mad_u64_u32 v[118:119], s[80:81], v81, s66, v[84:85]
	v_cmp_gt_i32_e64 s[12:13], s40, v118
	v_cmp_le_i32_e64 s[8:9], s60, v118
	s_and_b64 s[10:11], s[12:13], s[10:11]
	s_and_b64 s[10:11], s[10:11], s[8:9]
	;; [unrolled: 1-line block ×4, first 2 shown]
	s_and_b64 s[8:9], vcc, s[12:13]
	s_and_b64 s[10:11], vcc, s[10:11]
	v_dot2c_f32_f16_e32 v18, v116, v120
	v_dot2c_f32_f16_e32 v19, v116, v121
	;; [unrolled: 1-line block ×16, first 2 shown]
	v_cndmask_b32_e64 v81, 0, v11, s[4:5]
	v_cndmask_b32_e64 v84, 0, v9, s[4:5]
	;; [unrolled: 1-line block ×4, first 2 shown]
	ds_read_b128 v[8:11], v90 offset:15872
	s_waitcnt vmcnt(1)
	v_cndmask_b32_e64 v121, 0, v5, s[8:9]
	v_cndmask_b32_e64 v122, 0, v4, s[8:9]
	s_waitcnt vmcnt(0)
	v_cndmask_b32_e64 v123, 0, v3, s[10:11]
	v_cndmask_b32_e64 v124, 0, v2, s[10:11]
	ds_read_b128 v[2:5], v91 offset:32256
	ds_read_b128 v[12:15], v91 offset:32512
	;; [unrolled: 1-line block ×3, first 2 shown]
	s_add_i32 s4, s74, s74
	v_cndmask_b32_e64 v125, 0, v1, s[10:11]
	v_add_u32_e32 v92, s4, v92
	v_mul_lo_u32 v1, v87, s53
	v_cndmask_b32_e64 v7, 0, v7, s[8:9]
	v_cndmask_b32_e64 v6, 0, v6, s[8:9]
	ds_write2st64_b32 v93, v86, v84 offset0:64 offset1:66
	ds_write2st64_b32 v93, v83, v81 offset0:68 offset1:70
	;; [unrolled: 1-line block ×4, first 2 shown]
	ds_write2st64_b32 v93, v122, v121 offset1:2
	v_sub_u32_e32 v1, v92, v1
	v_mov_b32_e32 v81, v118
	s_cmp_lt_i32 s76, s67
	s_waitcnt lgkmcnt(7)
	v_dot2c_f32_f16_e32 v78, v8, v2
	v_dot2c_f32_f16_e32 v79, v8, v3
	v_dot2c_f32_f16_e32 v76, v8, v4
	v_dot2c_f32_f16_e32 v77, v8, v5
	v_dot2c_f32_f16_e32 v66, v9, v2
	v_dot2c_f32_f16_e32 v67, v9, v3
	v_dot2c_f32_f16_e32 v64, v9, v4
	v_dot2c_f32_f16_e32 v65, v9, v5
	v_dot2c_f32_f16_e32 v62, v10, v2
	v_dot2c_f32_f16_e32 v63, v10, v3
	v_dot2c_f32_f16_e32 v60, v10, v4
	v_dot2c_f32_f16_e32 v61, v10, v5
	v_dot2c_f32_f16_e32 v50, v11, v2
	v_dot2c_f32_f16_e32 v51, v11, v3
	v_dot2c_f32_f16_e32 v48, v11, v4
	v_dot2c_f32_f16_e32 v49, v11, v5
	s_waitcnt lgkmcnt(6)
	v_dot2c_f32_f16_e32 v74, v8, v12
	v_dot2c_f32_f16_e32 v75, v8, v13
	v_dot2c_f32_f16_e32 v72, v8, v14
	v_dot2c_f32_f16_e32 v73, v8, v15
	v_dot2c_f32_f16_e32 v70, v9, v12
	v_dot2c_f32_f16_e32 v71, v9, v13
	v_dot2c_f32_f16_e32 v68, v9, v14
	v_dot2c_f32_f16_e32 v69, v9, v15
	v_dot2c_f32_f16_e32 v58, v10, v12
	v_dot2c_f32_f16_e32 v59, v10, v13
	v_dot2c_f32_f16_e32 v56, v10, v14
	v_dot2c_f32_f16_e32 v57, v10, v15
	v_dot2c_f32_f16_e32 v54, v11, v12
	v_dot2c_f32_f16_e32 v55, v11, v13
	v_dot2c_f32_f16_e32 v52, v11, v14
	v_dot2c_f32_f16_e32 v53, v11, v15
	;; [unrolled: 17-line block ×3, first 2 shown]
	v_dot2c_f32_f16_e32 v22, v114, v12
	v_dot2c_f32_f16_e32 v23, v114, v13
	;; [unrolled: 1-line block ×16, first 2 shown]
	v_cndmask_b32_e64 v0, 0, v0, s[10:11]
	ds_write2st64_b32 v93, v6, v7 offset0:4 offset1:6
	ds_write2st64_b32 v93, v0, v125 offset0:8 offset1:10
	;; [unrolled: 1-line block ×3, first 2 shown]
	s_cbranch_scc1 .LBB6_1
; %bb.2:
	s_waitcnt lgkmcnt(0)
	s_barrier
	ds_read_b128 v[0:3], v90
	ds_read_b128 v[4:7], v91 offset:16384
	ds_read_b128 v[8:11], v91 offset:16640
	;; [unrolled: 1-line block ×3, first 2 shown]
	s_mul_i32 s2, s22, s62
	s_mul_hi_u32 s3, s22, s61
	s_add_i32 s2, s3, s2
	s_waitcnt lgkmcnt(2)
	v_dot2c_f32_f16_e32 v78, v0, v4
	v_dot2c_f32_f16_e32 v79, v0, v5
	;; [unrolled: 1-line block ×16, first 2 shown]
	s_waitcnt lgkmcnt(1)
	v_dot2c_f32_f16_e32 v74, v0, v8
	v_dot2c_f32_f16_e32 v75, v0, v9
	;; [unrolled: 1-line block ×16, first 2 shown]
	ds_read_b128 v[0:3], v90 offset:512
	s_waitcnt lgkmcnt(1)
	v_dot2c_f32_f16_e32 v18, v12, v4
	v_dot2c_f32_f16_e32 v19, v12, v5
	;; [unrolled: 1-line block ×16, first 2 shown]
	ds_read_b128 v[4:7], v91 offset:16896
	v_dot2c_f32_f16_e32 v22, v12, v8
	v_dot2c_f32_f16_e32 v23, v12, v9
	;; [unrolled: 1-line block ×16, first 2 shown]
	ds_read_b128 v[8:11], v91 offset:17152
	ds_read_b128 v[12:15], v90 offset:768
	s_waitcnt lgkmcnt(2)
	v_dot2c_f32_f16_e32 v78, v0, v4
	v_dot2c_f32_f16_e32 v79, v0, v5
	;; [unrolled: 1-line block ×16, first 2 shown]
	s_waitcnt lgkmcnt(1)
	v_dot2c_f32_f16_e32 v74, v0, v8
	v_dot2c_f32_f16_e32 v75, v0, v9
	;; [unrolled: 1-line block ×16, first 2 shown]
	ds_read_b128 v[0:3], v90 offset:1024
	s_waitcnt lgkmcnt(1)
	v_dot2c_f32_f16_e32 v18, v12, v4
	v_dot2c_f32_f16_e32 v19, v12, v5
	;; [unrolled: 1-line block ×16, first 2 shown]
	ds_read_b128 v[4:7], v91 offset:17408
	v_dot2c_f32_f16_e32 v22, v12, v8
	v_dot2c_f32_f16_e32 v23, v12, v9
	;; [unrolled: 1-line block ×16, first 2 shown]
	ds_read_b128 v[8:11], v91 offset:17664
	ds_read_b128 v[12:15], v90 offset:1280
	s_waitcnt lgkmcnt(2)
	v_dot2c_f32_f16_e32 v78, v0, v4
	v_dot2c_f32_f16_e32 v79, v0, v5
	;; [unrolled: 1-line block ×16, first 2 shown]
	s_waitcnt lgkmcnt(1)
	v_dot2c_f32_f16_e32 v74, v0, v8
	v_dot2c_f32_f16_e32 v75, v0, v9
	;; [unrolled: 1-line block ×16, first 2 shown]
	ds_read_b128 v[0:3], v90 offset:1536
	s_waitcnt lgkmcnt(1)
	v_dot2c_f32_f16_e32 v18, v12, v4
	v_dot2c_f32_f16_e32 v19, v12, v5
	;; [unrolled: 1-line block ×16, first 2 shown]
	ds_read_b128 v[4:7], v91 offset:17920
	v_dot2c_f32_f16_e32 v22, v12, v8
	v_dot2c_f32_f16_e32 v23, v12, v9
	;; [unrolled: 1-line block ×16, first 2 shown]
	ds_read_b128 v[8:11], v91 offset:18176
	ds_read_b128 v[12:15], v90 offset:1792
	s_waitcnt lgkmcnt(2)
	v_dot2c_f32_f16_e32 v78, v0, v4
	v_dot2c_f32_f16_e32 v79, v0, v5
	;; [unrolled: 1-line block ×16, first 2 shown]
	s_waitcnt lgkmcnt(1)
	v_dot2c_f32_f16_e32 v74, v0, v8
	v_dot2c_f32_f16_e32 v75, v0, v9
	;; [unrolled: 1-line block ×16, first 2 shown]
	ds_read_b128 v[0:3], v90 offset:2048
	s_waitcnt lgkmcnt(1)
	v_dot2c_f32_f16_e32 v18, v12, v4
	v_dot2c_f32_f16_e32 v19, v12, v5
	;; [unrolled: 1-line block ×16, first 2 shown]
	ds_read_b128 v[4:7], v91 offset:18432
	v_dot2c_f32_f16_e32 v22, v12, v8
	v_dot2c_f32_f16_e32 v23, v12, v9
	v_dot2c_f32_f16_e32 v20, v12, v10
	v_dot2c_f32_f16_e32 v21, v12, v11
	v_dot2c_f32_f16_e32 v26, v13, v8
	v_dot2c_f32_f16_e32 v27, v13, v9
	v_dot2c_f32_f16_e32 v24, v13, v10
	v_dot2c_f32_f16_e32 v25, v13, v11
	v_dot2c_f32_f16_e32 v38, v14, v8
	v_dot2c_f32_f16_e32 v39, v14, v9
	v_dot2c_f32_f16_e32 v36, v14, v10
	v_dot2c_f32_f16_e32 v37, v14, v11
	v_dot2c_f32_f16_e32 v44, v15, v8
	v_dot2c_f32_f16_e32 v45, v15, v9
	v_dot2c_f32_f16_e32 v42, v15, v10
	v_dot2c_f32_f16_e32 v43, v15, v11
	ds_read_b128 v[8:11], v91 offset:18688
	ds_read_b128 v[12:15], v90 offset:2304
	s_waitcnt lgkmcnt(2)
	v_dot2c_f32_f16_e32 v78, v0, v4
	v_dot2c_f32_f16_e32 v79, v0, v5
	;; [unrolled: 1-line block ×16, first 2 shown]
	s_waitcnt lgkmcnt(1)
	v_dot2c_f32_f16_e32 v74, v0, v8
	v_dot2c_f32_f16_e32 v75, v0, v9
	;; [unrolled: 1-line block ×16, first 2 shown]
	ds_read_b128 v[0:3], v90 offset:2560
	s_waitcnt lgkmcnt(1)
	v_dot2c_f32_f16_e32 v18, v12, v4
	v_dot2c_f32_f16_e32 v19, v12, v5
	;; [unrolled: 1-line block ×16, first 2 shown]
	ds_read_b128 v[4:7], v91 offset:18944
	v_dot2c_f32_f16_e32 v22, v12, v8
	v_dot2c_f32_f16_e32 v23, v12, v9
	;; [unrolled: 1-line block ×16, first 2 shown]
	ds_read_b128 v[8:11], v91 offset:19200
	ds_read_b128 v[12:15], v90 offset:2816
	s_waitcnt lgkmcnt(2)
	v_dot2c_f32_f16_e32 v78, v0, v4
	v_dot2c_f32_f16_e32 v79, v0, v5
	;; [unrolled: 1-line block ×16, first 2 shown]
	s_waitcnt lgkmcnt(1)
	v_dot2c_f32_f16_e32 v74, v0, v8
	v_dot2c_f32_f16_e32 v75, v0, v9
	;; [unrolled: 1-line block ×16, first 2 shown]
	ds_read_b128 v[0:3], v90 offset:3072
	s_waitcnt lgkmcnt(1)
	v_dot2c_f32_f16_e32 v18, v12, v4
	v_dot2c_f32_f16_e32 v19, v12, v5
	;; [unrolled: 1-line block ×16, first 2 shown]
	ds_read_b128 v[4:7], v91 offset:19456
	v_dot2c_f32_f16_e32 v22, v12, v8
	v_dot2c_f32_f16_e32 v23, v12, v9
	;; [unrolled: 1-line block ×16, first 2 shown]
	ds_read_b128 v[8:11], v91 offset:19712
	ds_read_b128 v[12:15], v90 offset:3328
	s_waitcnt lgkmcnt(2)
	v_dot2c_f32_f16_e32 v78, v0, v4
	v_dot2c_f32_f16_e32 v79, v0, v5
	v_dot2c_f32_f16_e32 v76, v0, v6
	v_dot2c_f32_f16_e32 v77, v0, v7
	v_dot2c_f32_f16_e32 v66, v1, v4
	v_dot2c_f32_f16_e32 v67, v1, v5
	v_dot2c_f32_f16_e32 v64, v1, v6
	v_dot2c_f32_f16_e32 v65, v1, v7
	v_dot2c_f32_f16_e32 v62, v2, v4
	v_dot2c_f32_f16_e32 v63, v2, v5
	v_dot2c_f32_f16_e32 v60, v2, v6
	v_dot2c_f32_f16_e32 v61, v2, v7
	v_dot2c_f32_f16_e32 v50, v3, v4
	v_dot2c_f32_f16_e32 v51, v3, v5
	v_dot2c_f32_f16_e32 v48, v3, v6
	v_dot2c_f32_f16_e32 v49, v3, v7
	s_waitcnt lgkmcnt(1)
	v_dot2c_f32_f16_e32 v74, v0, v8
	v_dot2c_f32_f16_e32 v75, v0, v9
	;; [unrolled: 1-line block ×16, first 2 shown]
	ds_read_b128 v[0:3], v90 offset:3584
	s_waitcnt lgkmcnt(1)
	v_dot2c_f32_f16_e32 v18, v12, v4
	v_dot2c_f32_f16_e32 v19, v12, v5
	;; [unrolled: 1-line block ×16, first 2 shown]
	ds_read_b128 v[4:7], v91 offset:19968
	v_dot2c_f32_f16_e32 v22, v12, v8
	v_dot2c_f32_f16_e32 v23, v12, v9
	;; [unrolled: 1-line block ×16, first 2 shown]
	ds_read_b128 v[8:11], v91 offset:20224
	ds_read_b128 v[12:15], v90 offset:3840
	s_waitcnt lgkmcnt(2)
	v_dot2c_f32_f16_e32 v78, v0, v4
	v_dot2c_f32_f16_e32 v79, v0, v5
	v_dot2c_f32_f16_e32 v76, v0, v6
	v_dot2c_f32_f16_e32 v77, v0, v7
	v_dot2c_f32_f16_e32 v66, v1, v4
	v_dot2c_f32_f16_e32 v67, v1, v5
	v_dot2c_f32_f16_e32 v64, v1, v6
	v_dot2c_f32_f16_e32 v65, v1, v7
	v_dot2c_f32_f16_e32 v62, v2, v4
	v_dot2c_f32_f16_e32 v63, v2, v5
	v_dot2c_f32_f16_e32 v60, v2, v6
	v_dot2c_f32_f16_e32 v61, v2, v7
	v_dot2c_f32_f16_e32 v50, v3, v4
	v_dot2c_f32_f16_e32 v51, v3, v5
	v_dot2c_f32_f16_e32 v48, v3, v6
	v_dot2c_f32_f16_e32 v49, v3, v7
	s_waitcnt lgkmcnt(1)
	v_dot2c_f32_f16_e32 v74, v0, v8
	v_dot2c_f32_f16_e32 v75, v0, v9
	;; [unrolled: 1-line block ×16, first 2 shown]
	ds_read_b128 v[0:3], v90 offset:4096
	s_waitcnt lgkmcnt(1)
	v_dot2c_f32_f16_e32 v18, v12, v4
	v_dot2c_f32_f16_e32 v19, v12, v5
	;; [unrolled: 1-line block ×16, first 2 shown]
	ds_read_b128 v[4:7], v91 offset:20480
	v_dot2c_f32_f16_e32 v22, v12, v8
	v_dot2c_f32_f16_e32 v23, v12, v9
	;; [unrolled: 1-line block ×16, first 2 shown]
	ds_read_b128 v[8:11], v91 offset:20736
	ds_read_b128 v[12:15], v90 offset:4352
	s_waitcnt lgkmcnt(2)
	v_dot2c_f32_f16_e32 v78, v0, v4
	v_dot2c_f32_f16_e32 v79, v0, v5
	;; [unrolled: 1-line block ×16, first 2 shown]
	s_waitcnt lgkmcnt(1)
	v_dot2c_f32_f16_e32 v74, v0, v8
	v_dot2c_f32_f16_e32 v75, v0, v9
	;; [unrolled: 1-line block ×16, first 2 shown]
	ds_read_b128 v[0:3], v90 offset:4608
	s_waitcnt lgkmcnt(1)
	v_dot2c_f32_f16_e32 v18, v12, v4
	v_dot2c_f32_f16_e32 v19, v12, v5
	;; [unrolled: 1-line block ×16, first 2 shown]
	ds_read_b128 v[4:7], v91 offset:20992
	v_dot2c_f32_f16_e32 v22, v12, v8
	v_dot2c_f32_f16_e32 v23, v12, v9
	;; [unrolled: 1-line block ×16, first 2 shown]
	ds_read_b128 v[8:11], v91 offset:21248
	ds_read_b128 v[12:15], v90 offset:4864
	s_waitcnt lgkmcnt(2)
	v_dot2c_f32_f16_e32 v78, v0, v4
	v_dot2c_f32_f16_e32 v79, v0, v5
	;; [unrolled: 1-line block ×16, first 2 shown]
	s_waitcnt lgkmcnt(1)
	v_dot2c_f32_f16_e32 v74, v0, v8
	v_dot2c_f32_f16_e32 v75, v0, v9
	;; [unrolled: 1-line block ×16, first 2 shown]
	ds_read_b128 v[0:3], v90 offset:5120
	s_waitcnt lgkmcnt(1)
	v_dot2c_f32_f16_e32 v18, v12, v4
	v_dot2c_f32_f16_e32 v19, v12, v5
	;; [unrolled: 1-line block ×16, first 2 shown]
	ds_read_b128 v[4:7], v91 offset:21504
	v_dot2c_f32_f16_e32 v22, v12, v8
	v_dot2c_f32_f16_e32 v23, v12, v9
	;; [unrolled: 1-line block ×16, first 2 shown]
	ds_read_b128 v[8:11], v91 offset:21760
	ds_read_b128 v[12:15], v90 offset:5376
	s_waitcnt lgkmcnt(2)
	v_dot2c_f32_f16_e32 v78, v0, v4
	v_dot2c_f32_f16_e32 v79, v0, v5
	;; [unrolled: 1-line block ×16, first 2 shown]
	s_waitcnt lgkmcnt(1)
	v_dot2c_f32_f16_e32 v74, v0, v8
	v_dot2c_f32_f16_e32 v75, v0, v9
	;; [unrolled: 1-line block ×16, first 2 shown]
	ds_read_b128 v[0:3], v90 offset:5632
	s_waitcnt lgkmcnt(1)
	v_dot2c_f32_f16_e32 v18, v12, v4
	v_dot2c_f32_f16_e32 v19, v12, v5
	;; [unrolled: 1-line block ×16, first 2 shown]
	ds_read_b128 v[4:7], v91 offset:22016
	v_dot2c_f32_f16_e32 v22, v12, v8
	v_dot2c_f32_f16_e32 v23, v12, v9
	;; [unrolled: 1-line block ×16, first 2 shown]
	ds_read_b128 v[8:11], v91 offset:22272
	ds_read_b128 v[12:15], v90 offset:5888
	s_waitcnt lgkmcnt(2)
	v_dot2c_f32_f16_e32 v78, v0, v4
	v_dot2c_f32_f16_e32 v79, v0, v5
	;; [unrolled: 1-line block ×16, first 2 shown]
	s_waitcnt lgkmcnt(1)
	v_dot2c_f32_f16_e32 v74, v0, v8
	v_dot2c_f32_f16_e32 v75, v0, v9
	;; [unrolled: 1-line block ×16, first 2 shown]
	ds_read_b128 v[0:3], v90 offset:6144
	s_waitcnt lgkmcnt(1)
	v_dot2c_f32_f16_e32 v18, v12, v4
	v_dot2c_f32_f16_e32 v19, v12, v5
	;; [unrolled: 1-line block ×16, first 2 shown]
	ds_read_b128 v[4:7], v91 offset:22528
	v_dot2c_f32_f16_e32 v22, v12, v8
	v_dot2c_f32_f16_e32 v23, v12, v9
	;; [unrolled: 1-line block ×16, first 2 shown]
	ds_read_b128 v[8:11], v91 offset:22784
	ds_read_b128 v[12:15], v90 offset:6400
	s_waitcnt lgkmcnt(2)
	v_dot2c_f32_f16_e32 v78, v0, v4
	v_dot2c_f32_f16_e32 v79, v0, v5
	;; [unrolled: 1-line block ×16, first 2 shown]
	s_waitcnt lgkmcnt(1)
	v_dot2c_f32_f16_e32 v74, v0, v8
	v_dot2c_f32_f16_e32 v75, v0, v9
	v_dot2c_f32_f16_e32 v72, v0, v10
	v_dot2c_f32_f16_e32 v73, v0, v11
	v_dot2c_f32_f16_e32 v70, v1, v8
	v_dot2c_f32_f16_e32 v71, v1, v9
	v_dot2c_f32_f16_e32 v68, v1, v10
	v_dot2c_f32_f16_e32 v69, v1, v11
	v_dot2c_f32_f16_e32 v58, v2, v8
	v_dot2c_f32_f16_e32 v59, v2, v9
	v_dot2c_f32_f16_e32 v56, v2, v10
	v_dot2c_f32_f16_e32 v57, v2, v11
	v_dot2c_f32_f16_e32 v54, v3, v8
	v_dot2c_f32_f16_e32 v55, v3, v9
	v_dot2c_f32_f16_e32 v52, v3, v10
	v_dot2c_f32_f16_e32 v53, v3, v11
	ds_read_b128 v[0:3], v90 offset:6656
	s_waitcnt lgkmcnt(1)
	v_dot2c_f32_f16_e32 v18, v12, v4
	v_dot2c_f32_f16_e32 v19, v12, v5
	;; [unrolled: 1-line block ×16, first 2 shown]
	ds_read_b128 v[4:7], v91 offset:23040
	v_dot2c_f32_f16_e32 v22, v12, v8
	v_dot2c_f32_f16_e32 v23, v12, v9
	;; [unrolled: 1-line block ×16, first 2 shown]
	ds_read_b128 v[8:11], v91 offset:23296
	ds_read_b128 v[12:15], v90 offset:6912
	s_mul_i32 s3, s23, s61
	s_add_i32 s3, s2, s3
	s_mul_i32 s2, s22, s61
	s_lshl_b64 s[2:3], s[2:3], 1
	s_load_dwordx2 s[0:1], s[0:1], 0x10
	s_add_u32 s8, s50, s2
	s_waitcnt lgkmcnt(0)
	v_dot2c_f32_f16_e32 v78, v0, v4
	v_dot2c_f32_f16_e32 v79, v0, v5
	;; [unrolled: 1-line block ×32, first 2 shown]
	ds_read_b128 v[0:3], v90 offset:7168
	v_dot2c_f32_f16_e32 v18, v12, v4
	v_dot2c_f32_f16_e32 v19, v12, v5
	;; [unrolled: 1-line block ×16, first 2 shown]
	ds_read_b128 v[4:7], v91 offset:23552
	v_dot2c_f32_f16_e32 v22, v12, v8
	v_dot2c_f32_f16_e32 v23, v12, v9
	;; [unrolled: 1-line block ×16, first 2 shown]
	ds_read_b128 v[8:11], v91 offset:23808
	ds_read_b128 v[12:15], v90 offset:7424
	s_addc_u32 s9, s51, s3
	s_mul_i32 s2, s20, s62
	s_mul_hi_u32 s3, s20, s61
	s_add_i32 s2, s3, s2
	s_mul_i32 s3, s21, s61
	s_add_i32 s3, s2, s3
	s_mul_i32 s2, s20, s61
	s_lshl_b64 s[2:3], s[2:3], 1
	v_lshl_or_b32 v109, s45, 7, v89
	s_add_u32 s4, s0, s2
	s_waitcnt lgkmcnt(2)
	v_dot2c_f32_f16_e32 v78, v0, v4
	v_dot2c_f32_f16_e32 v79, v0, v5
	v_dot2c_f32_f16_e32 v76, v0, v6
	v_dot2c_f32_f16_e32 v77, v0, v7
	v_dot2c_f32_f16_e32 v66, v1, v4
	v_dot2c_f32_f16_e32 v67, v1, v5
	v_dot2c_f32_f16_e32 v64, v1, v6
	v_dot2c_f32_f16_e32 v65, v1, v7
	v_dot2c_f32_f16_e32 v62, v2, v4
	v_dot2c_f32_f16_e32 v63, v2, v5
	v_dot2c_f32_f16_e32 v60, v2, v6
	v_dot2c_f32_f16_e32 v61, v2, v7
	v_dot2c_f32_f16_e32 v50, v3, v4
	v_dot2c_f32_f16_e32 v51, v3, v5
	v_dot2c_f32_f16_e32 v48, v3, v6
	v_dot2c_f32_f16_e32 v49, v3, v7
	s_waitcnt lgkmcnt(1)
	v_dot2c_f32_f16_e32 v74, v0, v8
	v_dot2c_f32_f16_e32 v75, v0, v9
	;; [unrolled: 1-line block ×16, first 2 shown]
	ds_read_b128 v[80:83], v90 offset:7680
	ds_read_b128 v[0:3], v91 offset:24064
	s_waitcnt lgkmcnt(2)
	v_dot2c_f32_f16_e32 v18, v12, v4
	v_dot2c_f32_f16_e32 v19, v12, v5
	;; [unrolled: 1-line block ×8, first 2 shown]
	v_lshl_add_u32 v108, s58, 7, v85
	v_mul_lo_u32 v12, v109, s48
	s_addc_u32 s0, s1, s3
	v_dot2c_f32_f16_e32 v30, v13, v4
	v_dot2c_f32_f16_e32 v31, v13, v5
	;; [unrolled: 1-line block ×24, first 2 shown]
	ds_read_b128 v[4:7], v91 offset:24320
	ds_read_b128 v[8:11], v90 offset:7936
	v_mad_u64_u32 v[12:13], s[2:3], v108, s49, v[12:13]
	v_add_u32_e32 v84, s48, v12
	s_lshl_b32 s2, s49, 6
	v_add_u32_e32 v88, s48, v84
	s_lshl_b32 s6, s46, 1
	s_and_b32 s5, s0, 0xffff
	s_mov_b32 s7, 0x20000
	v_lshlrev_b32_e32 v13, 1, v12
	v_add_lshl_u32 v86, v88, s2, 1
	s_waitcnt lgkmcnt(2)
	v_dot2c_f32_f16_e32 v62, v82, v0
	v_dot2c_f32_f16_e32 v63, v82, v1
	;; [unrolled: 1-line block ×4, first 2 shown]
	s_waitcnt lgkmcnt(1)
	v_dot2c_f32_f16_e32 v58, v82, v4
	v_dot2c_f32_f16_e32 v59, v82, v5
	;; [unrolled: 1-line block ×3, first 2 shown]
	buffer_load_dwordx2 v[14:15], v13, s[4:7], 0 offen
	v_dot2c_f32_f16_e32 v57, v82, v7
	v_add_lshl_u32 v82, v84, s2, 1
	buffer_load_dwordx2 v[86:87], v86, s[4:7], 0 offen
	v_add_lshl_u32 v13, v12, s2, 1
	v_lshlrev_b32_e32 v12, 1, v84
	v_lshlrev_b32_e32 v84, 1, v88
	v_add_u32_e32 v88, s48, v88
	v_lshlrev_b32_e32 v89, 1, v88
	v_dot2c_f32_f16_e32 v50, v83, v0
	v_dot2c_f32_f16_e32 v51, v83, v1
	;; [unrolled: 1-line block ×8, first 2 shown]
	buffer_load_dwordx2 v[82:83], v82, s[4:7], 0 offen
	v_dot2c_f32_f16_e32 v78, v80, v0
	buffer_load_dwordx2 v[90:91], v89, s[4:7], 0 offen
	v_add_lshl_u32 v89, v88, s2, 1
	v_dot2c_f32_f16_e32 v79, v80, v1
	v_dot2c_f32_f16_e32 v76, v80, v2
	;; [unrolled: 1-line block ×15, first 2 shown]
	buffer_load_dwordx2 v[80:81], v13, s[4:7], 0 offen
	buffer_load_dwordx2 v[92:93], v89, s[4:7], 0 offen
	v_mad_u64_u32 v[88:89], s[0:1], s48, 61, v[88:89]
	v_add_u32_e32 v100, s48, v88
	s_waitcnt lgkmcnt(0)
	v_dot2c_f32_f16_e32 v18, v8, v0
	v_dot2c_f32_f16_e32 v30, v9, v0
	v_lshlrev_b32_e32 v89, 1, v88
	v_dot2c_f32_f16_e32 v34, v10, v0
	v_dot2c_f32_f16_e32 v40, v11, v0
	v_add_u32_e32 v0, s48, v100
	buffer_load_dwordx2 v[94:95], v89, s[4:7], 0 offen
	v_add_lshl_u32 v89, v88, s2, 1
	v_lshlrev_b32_e32 v88, 1, v100
	v_add_lshl_u32 v98, v100, s2, 1
	v_lshlrev_b32_e32 v100, 1, v0
	buffer_load_dwordx2 v[96:97], v89, s[4:7], 0 offen
	v_dot2c_f32_f16_e32 v19, v8, v1
	buffer_load_dwordx2 v[88:89], v88, s[4:7], 0 offen
	v_dot2c_f32_f16_e32 v31, v9, v1
	;; [unrolled: 2-line block ×4, first 2 shown]
	buffer_load_dwordx2 v[84:85], v84, s[4:7], 0 offen
	v_add_lshl_u32 v1, v0, s2, 1
	buffer_load_dwordx2 v[98:99], v98, s[4:7], 0 offen
	v_add_u32_e32 v0, s48, v0
	buffer_load_dwordx2 v[102:103], v1, s[4:7], 0 offen
	v_lshlrev_b32_e32 v1, 1, v0
	buffer_load_dwordx2 v[104:105], v1, s[4:7], 0 offen
	v_add_lshl_u32 v0, v0, s2, 1
	buffer_load_dwordx2 v[106:107], v0, s[4:7], 0 offen
	v_cmp_gt_i32_e32 vcc, s41, v108
	v_cmp_gt_i32_e64 s[0:1], s33, v109
	s_and_b64 s[2:3], s[0:1], vcc
	v_dot2c_f32_f16_e32 v21, v8, v7
	v_dot2c_f32_f16_e32 v25, v9, v7
	;; [unrolled: 1-line block ×8, first 2 shown]
	s_waitcnt vmcnt(15)
	v_cndmask_b32_e64 v7, 0, v14, s[2:3]
	v_add_u32_e32 v14, 64, v108
	v_cndmask_b32_e64 v5, 0, v15, s[2:3]
	v_cmp_gt_i32_e64 s[2:3], s41, v14
	s_and_b64 s[0:1], s[0:1], s[2:3]
	v_or_b32_e32 v110, 2, v109
	v_or_b32_e32 v111, 3, v109
	;; [unrolled: 1-line block ×3, first 2 shown]
	v_dot2c_f32_f16_e32 v17, v8, v3
	v_dot2c_f32_f16_e32 v29, v9, v3
	;; [unrolled: 1-line block ×4, first 2 shown]
	v_add_u32_e32 v3, 0x41, v109
	v_dot2c_f32_f16_e32 v16, v8, v2
	v_dot2c_f32_f16_e32 v28, v9, v2
	v_dot2c_f32_f16_e32 v32, v10, v2
	v_dot2c_f32_f16_e32 v46, v11, v2
	v_dot2c_f32_f16_e32 v22, v8, v4
	v_dot2c_f32_f16_e32 v26, v9, v4
	v_dot2c_f32_f16_e32 v38, v10, v4
	v_dot2c_f32_f16_e32 v44, v11, v4
	v_dot2c_f32_f16_e32 v20, v8, v6
	v_dot2c_f32_f16_e32 v24, v9, v6
	v_dot2c_f32_f16_e32 v36, v10, v6
	v_dot2c_f32_f16_e32 v42, v11, v6
	v_cvt_f32_f16_e32 v6, v7
	v_cvt_f32_f16_sdwa v7, v7 dst_sel:DWORD dst_unused:UNUSED_PAD src0_sel:WORD_1
	v_cvt_f32_f16_e32 v10, v5
	v_cvt_f32_f16_sdwa v11, v5 dst_sel:DWORD dst_unused:UNUSED_PAD src0_sel:WORD_1
	v_mul_lo_u32 v8, v109, s34
	v_pk_add_f32 v[6:7], v[78:79], v[6:7]
	s_lshl_b32 s10, s44, 1
	v_max_f32_e32 v5, 0, v7
	v_max_f32_e32 v6, 0, v6
	v_pk_add_f32 v[10:11], v[76:77], v[10:11]
	v_cvt_pk_f16_f32 v6, v6, v5
	s_waitcnt vmcnt(11)
	v_cndmask_b32_e64 v15, 0, v81, s[0:1]
	v_or_b32_e32 v81, 1, v109
	v_cndmask_b32_e64 v80, 0, v80, s[0:1]
	v_cmp_gt_i32_e64 s[0:1], s33, v81
	s_and_b64 s[4:5], s[0:1], vcc
	s_and_b64 s[0:1], s[0:1], s[2:3]
	v_cndmask_b32_e64 v83, 0, v83, s[0:1]
	v_cndmask_b32_e64 v82, 0, v82, s[0:1]
	v_cmp_gt_i32_e64 s[0:1], s33, v110
	v_max_f32_e32 v5, 0, v11
	v_max_f32_e32 v7, 0, v10
	v_cvt_f32_f16_e32 v10, v80
	v_cvt_f32_f16_sdwa v11, v80 dst_sel:DWORD dst_unused:UNUSED_PAD src0_sel:WORD_1
	v_bfrev_b32_e32 v76, 1
	v_cvt_pk_f16_f32 v7, v7, v5
	s_and_b32 s9, s9, 0xffff
	s_mov_b32 s11, s7
	s_waitcnt vmcnt(5)
	v_cndmask_b32_e64 v13, 0, v13, s[4:5]
	v_cndmask_b32_e64 v12, 0, v12, s[4:5]
	s_and_b64 s[4:5], s[0:1], vcc
	s_and_b64 s[0:1], s[0:1], s[2:3]
	v_cndmask_b32_e64 v87, 0, v87, s[0:1]
	v_cndmask_b32_e64 v86, 0, v86, s[0:1]
	v_cmp_gt_i32_e64 s[0:1], s33, v111
	s_waitcnt vmcnt(4)
	v_cndmask_b32_e64 v85, 0, v85, s[4:5]
	v_cndmask_b32_e64 v84, 0, v84, s[4:5]
	s_and_b64 s[4:5], s[0:1], vcc
	s_and_b64 s[0:1], s[0:1], s[2:3]
	v_cndmask_b32_e64 v93, 0, v93, s[0:1]
	v_cndmask_b32_e64 v92, 0, v92, s[0:1]
	v_cmp_gt_i32_e64 s[0:1], s33, v0
	v_cndmask_b32_e64 v91, 0, v91, s[4:5]
	v_cndmask_b32_e64 v90, 0, v90, s[4:5]
	s_and_b64 s[4:5], s[0:1], vcc
	s_and_b64 s[0:1], s[0:1], s[2:3]
	v_cndmask_b32_e64 v2, 0, v94, s[4:5]
	v_cndmask_b32_e64 v4, 0, v97, s[0:1]
	;; [unrolled: 1-line block ×3, first 2 shown]
	v_cmp_gt_i32_e64 s[0:1], s33, v3
	v_cndmask_b32_e64 v1, 0, v95, s[4:5]
	s_and_b64 s[4:5], s[0:1], vcc
	s_and_b64 s[0:1], s[0:1], s[2:3]
	v_add_u32_e32 v97, 0x42, v109
	s_waitcnt vmcnt(3)
	v_cndmask_b32_e64 v95, 0, v99, s[0:1]
	v_cndmask_b32_e64 v96, 0, v98, s[0:1]
	v_cmp_gt_i32_e64 s[0:1], s33, v97
	v_cndmask_b32_e64 v89, 0, v89, s[4:5]
	v_cndmask_b32_e64 v88, 0, v88, s[4:5]
	s_and_b64 s[4:5], s[0:1], vcc
	s_and_b64 s[0:1], s[0:1], s[2:3]
	v_cndmask_b32_e64 v98, 0, v101, s[4:5]
	s_waitcnt vmcnt(2)
	v_cndmask_b32_e64 v101, 0, v102, s[0:1]
	v_add_u32_e32 v102, 0x43, v109
	v_cndmask_b32_e64 v99, 0, v100, s[4:5]
	v_cndmask_b32_e64 v100, 0, v103, s[0:1]
	v_cmp_gt_i32_e64 s[0:1], s33, v102
	s_and_b64 vcc, s[0:1], vcc
	s_waitcnt vmcnt(1)
	v_cndmask_b32_e32 v103, 0, v105, vcc
	v_cndmask_b32_e32 v104, 0, v104, vcc
	s_and_b64 vcc, s[0:1], s[2:3]
	s_waitcnt vmcnt(0)
	v_cndmask_b32_e32 v105, 0, v107, vcc
	v_cndmask_b32_e32 v106, 0, v106, vcc
	v_mad_u64_u32 v[8:9], s[0:1], v108, s35, v[8:9]
	v_cmp_gt_i32_e32 vcc, s43, v108
	v_cmp_gt_i32_e64 s[2:3], s24, v109
	s_and_b64 s[0:1], s[2:3], vcc
	v_cndmask_b32_e64 v5, v76, 0, s[0:1]
	v_lshl_add_u32 v5, v8, 1, v5
	buffer_store_dwordx2 v[6:7], v5, s[8:11], 0 offen
	v_pk_add_f32 v[6:7], v[74:75], v[10:11]
	v_cvt_f32_f16_e32 v10, v15
	v_cvt_f32_f16_sdwa v11, v15 dst_sel:DWORD dst_unused:UNUSED_PAD src0_sel:WORD_1
	v_max_f32_e32 v7, 0, v7
	v_max_f32_e32 v6, 0, v6
	v_cvt_pk_f16_f32 v6, v6, v7
	v_pk_add_f32 v[10:11], v[72:73], v[10:11]
	v_cmp_gt_i32_e64 s[0:1], s43, v14
	v_max_f32_e32 v7, 0, v11
	v_max_f32_e32 v9, 0, v10
	v_cvt_f32_f16_e32 v10, v82
	v_cvt_f32_f16_sdwa v11, v82 dst_sel:DWORD dst_unused:UNUSED_PAD src0_sel:WORD_1
	s_lshl_b32 s4, s35, 6
	s_and_b64 s[2:3], s[2:3], s[0:1]
	v_add_u32_e32 v5, s4, v8
	v_cvt_pk_f16_f32 v7, v9, v7
	v_cndmask_b32_e64 v9, v76, 0, s[2:3]
	v_lshl_add_u32 v9, v5, 1, v9
	buffer_store_dwordx2 v[6:7], v9, s[8:11], 0 offen
	v_pk_add_f32 v[6:7], v[70:71], v[10:11]
	v_cvt_f32_f16_e32 v10, v83
	v_cvt_f32_f16_sdwa v11, v83 dst_sel:DWORD dst_unused:UNUSED_PAD src0_sel:WORD_1
	v_max_f32_e32 v7, 0, v7
	v_max_f32_e32 v6, 0, v6
	v_cmp_gt_i32_e64 s[2:3], s24, v81
	v_pk_add_f32 v[10:11], v[68:69], v[10:11]
	v_cvt_pk_f16_f32 v6, v6, v7
	v_max_f32_e32 v7, 0, v11
	v_max_f32_e32 v9, 0, v10
	s_and_b64 s[6:7], s[2:3], s[0:1]
	v_add_u32_e32 v5, s34, v5
	v_cvt_pk_f16_f32 v7, v9, v7
	v_cndmask_b32_e64 v9, v76, 0, s[6:7]
	v_cvt_f32_f16_e32 v10, v12
	v_cvt_f32_f16_sdwa v11, v12 dst_sel:DWORD dst_unused:UNUSED_PAD src0_sel:WORD_1
	v_lshl_add_u32 v9, v5, 1, v9
	buffer_store_dwordx2 v[6:7], v9, s[8:11], 0 offen
	v_add_u32_e32 v12, s34, v8
	v_cvt_f32_f16_e32 v8, v13
	v_cvt_f32_f16_sdwa v9, v13 dst_sel:DWORD dst_unused:UNUSED_PAD src0_sel:WORD_1
	v_pk_add_f32 v[6:7], v[66:67], v[10:11]
	s_and_b64 s[2:3], s[2:3], vcc
	v_max_f32_e32 v7, 0, v7
	v_max_f32_e32 v6, 0, v6
	v_pk_add_f32 v[8:9], v[64:65], v[8:9]
	v_cvt_pk_f16_f32 v6, v6, v7
	v_max_f32_e32 v7, 0, v9
	v_max_f32_e32 v8, 0, v8
	v_cvt_pk_f16_f32 v7, v8, v7
	v_cvt_f32_f16_e32 v8, v84
	v_cvt_f32_f16_sdwa v9, v84 dst_sel:DWORD dst_unused:UNUSED_PAD src0_sel:WORD_1
	v_cndmask_b32_e64 v10, v76, 0, s[2:3]
	v_lshl_add_u32 v10, v12, 1, v10
	buffer_store_dwordx2 v[6:7], v10, s[8:11], 0 offen
	v_pk_add_f32 v[6:7], v[62:63], v[8:9]
	v_cvt_f32_f16_e32 v8, v85
	v_cvt_f32_f16_sdwa v9, v85 dst_sel:DWORD dst_unused:UNUSED_PAD src0_sel:WORD_1
	v_max_f32_e32 v7, 0, v7
	v_max_f32_e32 v6, 0, v6
	v_cvt_pk_f16_f32 v6, v6, v7
	v_pk_add_f32 v[8:9], v[60:61], v[8:9]
	v_cmp_gt_i32_e64 s[2:3], s24, v110
	v_max_f32_e32 v7, 0, v9
	v_max_f32_e32 v8, 0, v8
	v_cvt_pk_f16_f32 v7, v8, v7
	v_cvt_f32_f16_e32 v8, v86
	v_cvt_f32_f16_sdwa v9, v86 dst_sel:DWORD dst_unused:UNUSED_PAD src0_sel:WORD_1
	s_and_b64 s[6:7], s[2:3], vcc
	v_add_u32_e32 v10, s34, v12
	v_cndmask_b32_e64 v11, v76, 0, s[6:7]
	v_lshl_add_u32 v10, v10, 1, v11
	buffer_store_dwordx2 v[6:7], v10, s[8:11], 0 offen
	v_pk_add_f32 v[6:7], v[58:59], v[8:9]
	v_cvt_f32_f16_e32 v8, v87
	v_cvt_f32_f16_sdwa v9, v87 dst_sel:DWORD dst_unused:UNUSED_PAD src0_sel:WORD_1
	v_max_f32_e32 v7, 0, v7
	v_max_f32_e32 v6, 0, v6
	v_cvt_pk_f16_f32 v6, v6, v7
	v_pk_add_f32 v[8:9], v[56:57], v[8:9]
	s_and_b64 s[2:3], s[2:3], s[0:1]
	v_max_f32_e32 v7, 0, v9
	v_max_f32_e32 v8, 0, v8
	v_cvt_pk_f16_f32 v7, v8, v7
	v_cvt_f32_f16_e32 v8, v92
	v_cvt_f32_f16_sdwa v9, v92 dst_sel:DWORD dst_unused:UNUSED_PAD src0_sel:WORD_1
	v_add_u32_e32 v5, s34, v5
	v_cndmask_b32_e64 v10, v76, 0, s[2:3]
	v_lshl_add_u32 v10, v5, 1, v10
	buffer_store_dwordx2 v[6:7], v10, s[8:11], 0 offen
	v_pk_add_f32 v[6:7], v[54:55], v[8:9]
	v_cvt_f32_f16_e32 v8, v93
	v_cvt_f32_f16_sdwa v9, v93 dst_sel:DWORD dst_unused:UNUSED_PAD src0_sel:WORD_1
	v_max_f32_e32 v7, 0, v7
	v_max_f32_e32 v6, 0, v6
	v_cvt_pk_f16_f32 v6, v6, v7
	v_pk_add_f32 v[8:9], v[52:53], v[8:9]
	v_cmp_gt_i32_e64 s[2:3], s24, v111
	v_max_f32_e32 v7, 0, v9
	v_max_f32_e32 v8, 0, v8
	v_cvt_pk_f16_f32 v7, v8, v7
	v_cvt_f32_f16_e32 v8, v90
	v_cvt_f32_f16_sdwa v9, v90 dst_sel:DWORD dst_unused:UNUSED_PAD src0_sel:WORD_1
	s_and_b64 s[6:7], s[2:3], s[0:1]
	v_add_u32_e32 v10, s34, v5
	v_cndmask_b32_e64 v11, v76, 0, s[6:7]
	v_lshl_add_u32 v11, v10, 1, v11
	buffer_store_dwordx2 v[6:7], v11, s[8:11], 0 offen
	v_pk_add_f32 v[6:7], v[50:51], v[8:9]
	v_cvt_f32_f16_e32 v8, v91
	v_cvt_f32_f16_sdwa v9, v91 dst_sel:DWORD dst_unused:UNUSED_PAD src0_sel:WORD_1
	v_max_f32_e32 v7, 0, v7
	v_max_f32_e32 v6, 0, v6
	v_cvt_pk_f16_f32 v6, v6, v7
	v_pk_add_f32 v[8:9], v[48:49], v[8:9]
	s_and_b64 s[2:3], s[2:3], vcc
	v_max_f32_e32 v7, 0, v9
	v_max_f32_e32 v8, 0, v8
	v_subrev_u32_e32 v11, s4, v10
	v_cvt_pk_f16_f32 v7, v8, v7
	v_cndmask_b32_e64 v8, v76, 0, s[2:3]
	v_lshl_add_u32 v12, v11, 1, v8
	v_cvt_f32_f16_e32 v8, v104
	v_cvt_f32_f16_sdwa v9, v104 dst_sel:DWORD dst_unused:UNUSED_PAD src0_sel:WORD_1
	buffer_store_dwordx2 v[6:7], v12, s[8:11], 0 offen
	v_cmp_gt_i32_e64 s[2:3], s24, v102
	s_lshl_b32 s5, s34, 6
	v_pk_add_f32 v[6:7], v[40:41], v[8:9]
	v_cvt_f32_f16_e32 v8, v103
	v_cvt_f32_f16_sdwa v9, v103 dst_sel:DWORD dst_unused:UNUSED_PAD src0_sel:WORD_1
	v_max_f32_e32 v7, 0, v7
	v_max_f32_e32 v6, 0, v6
	v_cvt_pk_f16_f32 v6, v6, v7
	v_pk_add_f32 v[8:9], v[46:47], v[8:9]
	s_and_b64 s[6:7], s[2:3], vcc
	v_max_f32_e32 v7, 0, v9
	v_max_f32_e32 v8, 0, v8
	v_cvt_pk_f16_f32 v7, v8, v7
	v_cvt_f32_f16_e32 v8, v106
	v_cvt_f32_f16_sdwa v9, v106 dst_sel:DWORD dst_unused:UNUSED_PAD src0_sel:WORD_1
	v_add_u32_e32 v11, s5, v11
	v_cndmask_b32_e64 v12, v76, 0, s[6:7]
	v_lshl_add_u32 v11, v11, 1, v12
	buffer_store_dwordx2 v[6:7], v11, s[8:11], 0 offen
	v_pk_add_f32 v[6:7], v[44:45], v[8:9]
	v_cvt_f32_f16_e32 v8, v105
	v_cvt_f32_f16_sdwa v9, v105 dst_sel:DWORD dst_unused:UNUSED_PAD src0_sel:WORD_1
	v_max_f32_e32 v7, 0, v7
	v_max_f32_e32 v6, 0, v6
	v_cvt_pk_f16_f32 v6, v6, v7
	v_pk_add_f32 v[8:9], v[42:43], v[8:9]
	s_and_b64 s[2:3], s[2:3], s[0:1]
	v_max_f32_e32 v7, 0, v9
	v_max_f32_e32 v8, 0, v8
	v_cvt_pk_f16_f32 v7, v8, v7
	v_cvt_f32_f16_e32 v8, v101
	v_cvt_f32_f16_sdwa v9, v101 dst_sel:DWORD dst_unused:UNUSED_PAD src0_sel:WORD_1
	v_add_u32_e32 v10, s5, v10
	v_cndmask_b32_e64 v11, v76, 0, s[2:3]
	v_lshl_add_u32 v10, v10, 1, v11
	buffer_store_dwordx2 v[6:7], v10, s[8:11], 0 offen
	v_pk_add_f32 v[6:7], v[38:39], v[8:9]
	v_cvt_f32_f16_e32 v8, v100
	v_cvt_f32_f16_sdwa v9, v100 dst_sel:DWORD dst_unused:UNUSED_PAD src0_sel:WORD_1
	v_max_f32_e32 v7, 0, v7
	v_max_f32_e32 v6, 0, v6
	v_cvt_pk_f16_f32 v6, v6, v7
	v_pk_add_f32 v[8:9], v[36:37], v[8:9]
	v_cmp_ge_i32_e64 s[2:3], s24, v102
	v_max_f32_e32 v7, 0, v9
	v_max_f32_e32 v8, 0, v8
	v_cvt_pk_f16_f32 v7, v8, v7
	v_cvt_f32_f16_e32 v8, v99
	v_cvt_f32_f16_sdwa v9, v99 dst_sel:DWORD dst_unused:UNUSED_PAD src0_sel:WORD_1
	s_and_b64 s[2:3], s[2:3], s[0:1]
	v_add_u32_e32 v5, s5, v5
	v_cndmask_b32_e64 v10, v76, 0, s[2:3]
	v_lshl_add_u32 v10, v5, 1, v10
	buffer_store_dwordx2 v[6:7], v10, s[8:11], 0 offen
	v_pk_add_f32 v[6:7], v[34:35], v[8:9]
	v_cvt_f32_f16_e32 v8, v98
	v_cvt_f32_f16_sdwa v9, v98 dst_sel:DWORD dst_unused:UNUSED_PAD src0_sel:WORD_1
	v_max_f32_e32 v7, 0, v7
	v_max_f32_e32 v6, 0, v6
	v_cvt_pk_f16_f32 v6, v6, v7
	v_pk_add_f32 v[8:9], v[32:33], v[8:9]
	v_cmp_gt_i32_e64 s[2:3], s24, v97
	v_max_f32_e32 v7, 0, v9
	v_max_f32_e32 v8, 0, v8
	v_cvt_pk_f16_f32 v7, v8, v7
	v_cvt_f32_f16_e32 v8, v88
	v_cvt_f32_f16_sdwa v9, v88 dst_sel:DWORD dst_unused:UNUSED_PAD src0_sel:WORD_1
	s_and_b64 s[2:3], s[2:3], vcc
	v_subrev_u32_e32 v5, s4, v5
	v_cndmask_b32_e64 v10, v76, 0, s[2:3]
	v_lshl_add_u32 v10, v5, 1, v10
	buffer_store_dwordx2 v[6:7], v10, s[8:11], 0 offen
	v_pk_add_f32 v[6:7], v[30:31], v[8:9]
	v_cvt_f32_f16_e32 v8, v89
	v_cvt_f32_f16_sdwa v9, v89 dst_sel:DWORD dst_unused:UNUSED_PAD src0_sel:WORD_1
	v_max_f32_e32 v7, 0, v7
	v_max_f32_e32 v6, 0, v6
	v_cvt_pk_f16_f32 v6, v6, v7
	v_pk_add_f32 v[8:9], v[28:29], v[8:9]
	v_cmp_ge_i32_e64 s[2:3], s24, v97
	v_max_f32_e32 v7, 0, v9
	v_max_f32_e32 v8, 0, v8
	v_cvt_pk_f16_f32 v7, v8, v7
	v_cvt_f32_f16_e32 v8, v96
	v_cvt_f32_f16_sdwa v9, v96 dst_sel:DWORD dst_unused:UNUSED_PAD src0_sel:WORD_1
	s_and_b64 s[2:3], s[2:3], vcc
	v_subrev_u32_e32 v5, s34, v5
	v_cndmask_b32_e64 v10, v76, 0, s[2:3]
	v_lshl_add_u32 v10, v5, 1, v10
	buffer_store_dwordx2 v[6:7], v10, s[8:11], 0 offen
	v_pk_add_f32 v[6:7], v[26:27], v[8:9]
	v_cvt_f32_f16_e32 v8, v95
	v_cvt_f32_f16_sdwa v9, v95 dst_sel:DWORD dst_unused:UNUSED_PAD src0_sel:WORD_1
	v_max_f32_e32 v7, 0, v7
	v_max_f32_e32 v6, 0, v6
	v_cvt_pk_f16_f32 v6, v6, v7
	v_pk_add_f32 v[8:9], v[24:25], v[8:9]
	v_cmp_gt_i32_e64 s[2:3], s24, v3
	v_max_f32_e32 v7, 0, v9
	v_max_f32_e32 v8, 0, v8
	v_cvt_pk_f16_f32 v7, v8, v7
	v_cvt_f32_f16_e32 v8, v94
	v_cvt_f32_f16_sdwa v9, v94 dst_sel:DWORD dst_unused:UNUSED_PAD src0_sel:WORD_1
	s_and_b64 s[2:3], s[2:3], s[0:1]
	v_add_u32_e32 v5, s4, v5
	v_cndmask_b32_e64 v10, v76, 0, s[2:3]
	v_lshl_add_u32 v10, v5, 1, v10
	buffer_store_dwordx2 v[6:7], v10, s[8:11], 0 offen
	v_pk_add_f32 v[6:7], v[22:23], v[8:9]
	v_cvt_f32_f16_e32 v8, v4
	v_cvt_f32_f16_sdwa v9, v4 dst_sel:DWORD dst_unused:UNUSED_PAD src0_sel:WORD_1
	v_cmp_ge_i32_e64 s[2:3], s24, v3
	v_subrev_u32_e32 v10, s34, v5
	v_max_f32_e32 v4, 0, v7
	v_max_f32_e32 v5, 0, v6
	v_pk_add_f32 v[6:7], v[20:21], v[8:9]
	s_and_b64 s[0:1], s[2:3], s[0:1]
	v_cvt_pk_f16_f32 v4, v5, v4
	v_max_f32_e32 v5, 0, v7
	v_max_f32_e32 v6, 0, v6
	v_cndmask_b32_e64 v3, v76, 0, s[0:1]
	v_cvt_pk_f16_f32 v5, v6, v5
	v_cvt_f32_f16_e32 v6, v2
	v_cvt_f32_f16_sdwa v7, v2 dst_sel:DWORD dst_unused:UNUSED_PAD src0_sel:WORD_1
	v_lshl_add_u32 v2, v10, 1, v3
	buffer_store_dwordx2 v[4:5], v2, s[8:11], 0 offen
	v_cvt_f32_f16_e32 v4, v1
	v_cvt_f32_f16_sdwa v5, v1 dst_sel:DWORD dst_unused:UNUSED_PAD src0_sel:WORD_1
	v_pk_add_f32 v[2:3], v[18:19], v[6:7]
	v_cmp_gt_i32_e64 s[0:1], s24, v0
	v_max_f32_e32 v1, 0, v3
	v_max_f32_e32 v2, 0, v2
	v_pk_add_f32 v[4:5], v[16:17], v[4:5]
	s_and_b64 s[0:1], s[0:1], vcc
	v_subrev_u32_e32 v8, s4, v10
	v_cvt_pk_f16_f32 v2, v2, v1
	v_max_f32_e32 v1, 0, v5
	v_max_f32_e32 v3, 0, v4
	v_cndmask_b32_e64 v0, v76, 0, s[0:1]
	v_cvt_pk_f16_f32 v3, v3, v1
	v_lshl_add_u32 v0, v8, 1, v0
	buffer_store_dwordx2 v[2:3], v0, s[8:11], 0 offen
	s_endpgm
	.section	.rodata,"a",@progbits
	.p2align	6, 0x0
	.amdhsa_kernel _ZN2ck16tensor_operation6device12_GLOBAL__N_137kernel_grouped_conv_fwd_dl_multiple_dINS_32GridwiseGemmDlMultipleD_km_kn_mnILi256EDF16_fNS_5TupleIJDF16_EEEDF16_NS0_12element_wise11PassThroughES8_NS7_7AddReluELNS_25InMemoryDataOperationEnumE0ENS_16TensorDescriptorINS5_IJNS_5EmbedINS5_IJiiiiEEESD_Lb0EEENS_11PassThroughIiEENS_3PadIiiiLb0EEESI_SG_SG_NSC_INS5_IJiiEEESJ_Lb0EEESK_SG_NS_23Merge_v2_magic_divisionINS5_IJiiiEEEEESN_NS_8RightPadIiiLb0EEESP_NS_7UnMergeISJ_Lb0EEESG_EEENS5_IJNS_8SequenceIJLi0EEEENST_IJLi1EEEENST_IJLi2EEEENST_IJLi3EEEENST_IJLi4EEEENST_IJLi5EEEENST_IJLi6EEEENST_IJLi7EEEENST_IJLi8EEEENST_IJLi9ELi11ELi13EEEENST_IJLi10ELi12ELi14EEEENST_IJLi15EEEENST_IJLi16EEEENST_IJLi18EEEENST_IJLi17EEEEEEENS5_IJNST_IJLi1ELi2ELi3ELi4EEEESZ_S10_S11_S12_NST_IJLi9EEEENST_IJLi10ELi11EEEENST_IJLi12ELi13EEEENST_IJLi14EEEES15_S16_S18_S17_NST_IJLi19ELi20EEEENST_IJLi21EEEEEEENST_IJLi19ELi21ELi20EEEElEENSB_INS5_IJSR_SP_SP_SR_SG_EEENS5_IJSU_SV_SW_SY_SX_EEENS5_IJNST_IJLi1ELi2EEEESX_SY_NST_IJLi5ELi6EEEES11_EEENST_IJLi5ELi7ELi6EEEElEENSB_INS5_IJSK_SP_SP_EEENS5_IJSU_SV_SW_EEENS5_IJS1M_SX_SY_EEENST_IJLi3ELi4EEEElEELi128ELi128ELi16ELi2ELi4ELi4ELi1ENST_IJLi8ELi2EEEES1W_NST_IJLi8ELi1ELi1ELi2EEEENST_IJLi2ELi1ELi128ELi1EEEENST_IJLi1ELi2ELi0ELi3EEEES1Z_NST_IJLi4ELi1ELi1ELi2EEEES1Z_NST_IJLi1ELi1ELi1ELi2EEEES1X_S1Y_S1Z_S1Z_S20_S1Z_S21_NST_IJLi0ELi1ELi2ELi3ELi4ELi5EEEELi5ELi4EEEDF16_NS5_IJPKDF16_EEEDF16_S8_S8_S9_NSB_INS5_IJSE_SG_SI_SI_SG_SG_SK_SK_SG_SN_SN_SP_SP_SR_SG_SG_NSQ_INS5_IJiNS_17integral_constantIiLi128EEEEEELb0EEENSF_INS27_IiLi2EEEEEEEENS5_IJSU_SV_SW_SX_SY_SZ_S10_S11_S12_S13_S14_S15_S16_S17_S18_NST_IJLi19EEEES1G_NST_IJLi20EEEEEEENS5_IJS1A_SZ_S10_S11_S12_S1B_S1C_S1D_S1E_S15_S16_S18_S17_S1F_S1G_NST_IJLi22EEEENST_IJLi23ELi24EEEENST_IJLi25EEEEEEENST_IJLi22ELi23ELi24ELi25EEEElEENSB_INS5_IJSR_SP_SP_SR_SG_SG_S2A_S2C_EEENS5_IJSU_SV_SW_SY_SX_SZ_S11_S10_EEENS5_IJS1M_SX_SY_S1N_S11_S12_NST_IJLi9ELi10EEEENST_IJLi11EEEEEEENST_IJLi8ELi9ELi10ELi11EEEElEENS5_IJNSB_INS5_IJSK_SP_SP_NSQ_INS5_IJiS2B_NS27_IiLi64EEEEEELb0EEES2W_EEENS5_IJSU_SV_SW_SX_SY_EEENS5_IJS1M_SX_SY_NST_IJLi5ELi6ELi7EEEENST_IJLi8ELi9ELi10EEEEEEENST_IJLi5ELi6ELi7ELi8ELi9ELi10EEEElEEEEES33_NS_31BlockToCTileMap_M00_N00_M01_N01ILi128ELi128ES1V_Lb0EEENS1_30ComputePtrOffsetOfStridedBatchILi1ELi1ELi1EvEELb1ELb0EEEvPKT0_S3B_T1_PT2_T3_T4_T5_iT6_T7_T8_T9_T10_T11_
		.amdhsa_group_segment_fixed_size 32768
		.amdhsa_private_segment_fixed_size 0
		.amdhsa_kernarg_size 968
		.amdhsa_user_sgpr_count 2
		.amdhsa_user_sgpr_dispatch_ptr 0
		.amdhsa_user_sgpr_queue_ptr 0
		.amdhsa_user_sgpr_kernarg_segment_ptr 1
		.amdhsa_user_sgpr_dispatch_id 0
		.amdhsa_user_sgpr_kernarg_preload_length 0
		.amdhsa_user_sgpr_kernarg_preload_offset 0
		.amdhsa_user_sgpr_private_segment_size 0
		.amdhsa_uses_dynamic_stack 0
		.amdhsa_enable_private_segment 0
		.amdhsa_system_sgpr_workgroup_id_x 1
		.amdhsa_system_sgpr_workgroup_id_y 0
		.amdhsa_system_sgpr_workgroup_id_z 0
		.amdhsa_system_sgpr_workgroup_info 0
		.amdhsa_system_vgpr_workitem_id 0
		.amdhsa_next_free_vgpr 130
		.amdhsa_next_free_sgpr 96
		.amdhsa_accum_offset 132
		.amdhsa_reserve_vcc 1
		.amdhsa_float_round_mode_32 0
		.amdhsa_float_round_mode_16_64 0
		.amdhsa_float_denorm_mode_32 3
		.amdhsa_float_denorm_mode_16_64 3
		.amdhsa_dx10_clamp 1
		.amdhsa_ieee_mode 1
		.amdhsa_fp16_overflow 0
		.amdhsa_tg_split 0
		.amdhsa_exception_fp_ieee_invalid_op 0
		.amdhsa_exception_fp_denorm_src 0
		.amdhsa_exception_fp_ieee_div_zero 0
		.amdhsa_exception_fp_ieee_overflow 0
		.amdhsa_exception_fp_ieee_underflow 0
		.amdhsa_exception_fp_ieee_inexact 0
		.amdhsa_exception_int_div_zero 0
	.end_amdhsa_kernel
	.section	.text._ZN2ck16tensor_operation6device12_GLOBAL__N_137kernel_grouped_conv_fwd_dl_multiple_dINS_32GridwiseGemmDlMultipleD_km_kn_mnILi256EDF16_fNS_5TupleIJDF16_EEEDF16_NS0_12element_wise11PassThroughES8_NS7_7AddReluELNS_25InMemoryDataOperationEnumE0ENS_16TensorDescriptorINS5_IJNS_5EmbedINS5_IJiiiiEEESD_Lb0EEENS_11PassThroughIiEENS_3PadIiiiLb0EEESI_SG_SG_NSC_INS5_IJiiEEESJ_Lb0EEESK_SG_NS_23Merge_v2_magic_divisionINS5_IJiiiEEEEESN_NS_8RightPadIiiLb0EEESP_NS_7UnMergeISJ_Lb0EEESG_EEENS5_IJNS_8SequenceIJLi0EEEENST_IJLi1EEEENST_IJLi2EEEENST_IJLi3EEEENST_IJLi4EEEENST_IJLi5EEEENST_IJLi6EEEENST_IJLi7EEEENST_IJLi8EEEENST_IJLi9ELi11ELi13EEEENST_IJLi10ELi12ELi14EEEENST_IJLi15EEEENST_IJLi16EEEENST_IJLi18EEEENST_IJLi17EEEEEEENS5_IJNST_IJLi1ELi2ELi3ELi4EEEESZ_S10_S11_S12_NST_IJLi9EEEENST_IJLi10ELi11EEEENST_IJLi12ELi13EEEENST_IJLi14EEEES15_S16_S18_S17_NST_IJLi19ELi20EEEENST_IJLi21EEEEEEENST_IJLi19ELi21ELi20EEEElEENSB_INS5_IJSR_SP_SP_SR_SG_EEENS5_IJSU_SV_SW_SY_SX_EEENS5_IJNST_IJLi1ELi2EEEESX_SY_NST_IJLi5ELi6EEEES11_EEENST_IJLi5ELi7ELi6EEEElEENSB_INS5_IJSK_SP_SP_EEENS5_IJSU_SV_SW_EEENS5_IJS1M_SX_SY_EEENST_IJLi3ELi4EEEElEELi128ELi128ELi16ELi2ELi4ELi4ELi1ENST_IJLi8ELi2EEEES1W_NST_IJLi8ELi1ELi1ELi2EEEENST_IJLi2ELi1ELi128ELi1EEEENST_IJLi1ELi2ELi0ELi3EEEES1Z_NST_IJLi4ELi1ELi1ELi2EEEES1Z_NST_IJLi1ELi1ELi1ELi2EEEES1X_S1Y_S1Z_S1Z_S20_S1Z_S21_NST_IJLi0ELi1ELi2ELi3ELi4ELi5EEEELi5ELi4EEEDF16_NS5_IJPKDF16_EEEDF16_S8_S8_S9_NSB_INS5_IJSE_SG_SI_SI_SG_SG_SK_SK_SG_SN_SN_SP_SP_SR_SG_SG_NSQ_INS5_IJiNS_17integral_constantIiLi128EEEEEELb0EEENSF_INS27_IiLi2EEEEEEEENS5_IJSU_SV_SW_SX_SY_SZ_S10_S11_S12_S13_S14_S15_S16_S17_S18_NST_IJLi19EEEES1G_NST_IJLi20EEEEEEENS5_IJS1A_SZ_S10_S11_S12_S1B_S1C_S1D_S1E_S15_S16_S18_S17_S1F_S1G_NST_IJLi22EEEENST_IJLi23ELi24EEEENST_IJLi25EEEEEEENST_IJLi22ELi23ELi24ELi25EEEElEENSB_INS5_IJSR_SP_SP_SR_SG_SG_S2A_S2C_EEENS5_IJSU_SV_SW_SY_SX_SZ_S11_S10_EEENS5_IJS1M_SX_SY_S1N_S11_S12_NST_IJLi9ELi10EEEENST_IJLi11EEEEEEENST_IJLi8ELi9ELi10ELi11EEEElEENS5_IJNSB_INS5_IJSK_SP_SP_NSQ_INS5_IJiS2B_NS27_IiLi64EEEEEELb0EEES2W_EEENS5_IJSU_SV_SW_SX_SY_EEENS5_IJS1M_SX_SY_NST_IJLi5ELi6ELi7EEEENST_IJLi8ELi9ELi10EEEEEEENST_IJLi5ELi6ELi7ELi8ELi9ELi10EEEElEEEEES33_NS_31BlockToCTileMap_M00_N00_M01_N01ILi128ELi128ES1V_Lb0EEENS1_30ComputePtrOffsetOfStridedBatchILi1ELi1ELi1EvEELb1ELb0EEEvPKT0_S3B_T1_PT2_T3_T4_T5_iT6_T7_T8_T9_T10_T11_,"axG",@progbits,_ZN2ck16tensor_operation6device12_GLOBAL__N_137kernel_grouped_conv_fwd_dl_multiple_dINS_32GridwiseGemmDlMultipleD_km_kn_mnILi256EDF16_fNS_5TupleIJDF16_EEEDF16_NS0_12element_wise11PassThroughES8_NS7_7AddReluELNS_25InMemoryDataOperationEnumE0ENS_16TensorDescriptorINS5_IJNS_5EmbedINS5_IJiiiiEEESD_Lb0EEENS_11PassThroughIiEENS_3PadIiiiLb0EEESI_SG_SG_NSC_INS5_IJiiEEESJ_Lb0EEESK_SG_NS_23Merge_v2_magic_divisionINS5_IJiiiEEEEESN_NS_8RightPadIiiLb0EEESP_NS_7UnMergeISJ_Lb0EEESG_EEENS5_IJNS_8SequenceIJLi0EEEENST_IJLi1EEEENST_IJLi2EEEENST_IJLi3EEEENST_IJLi4EEEENST_IJLi5EEEENST_IJLi6EEEENST_IJLi7EEEENST_IJLi8EEEENST_IJLi9ELi11ELi13EEEENST_IJLi10ELi12ELi14EEEENST_IJLi15EEEENST_IJLi16EEEENST_IJLi18EEEENST_IJLi17EEEEEEENS5_IJNST_IJLi1ELi2ELi3ELi4EEEESZ_S10_S11_S12_NST_IJLi9EEEENST_IJLi10ELi11EEEENST_IJLi12ELi13EEEENST_IJLi14EEEES15_S16_S18_S17_NST_IJLi19ELi20EEEENST_IJLi21EEEEEEENST_IJLi19ELi21ELi20EEEElEENSB_INS5_IJSR_SP_SP_SR_SG_EEENS5_IJSU_SV_SW_SY_SX_EEENS5_IJNST_IJLi1ELi2EEEESX_SY_NST_IJLi5ELi6EEEES11_EEENST_IJLi5ELi7ELi6EEEElEENSB_INS5_IJSK_SP_SP_EEENS5_IJSU_SV_SW_EEENS5_IJS1M_SX_SY_EEENST_IJLi3ELi4EEEElEELi128ELi128ELi16ELi2ELi4ELi4ELi1ENST_IJLi8ELi2EEEES1W_NST_IJLi8ELi1ELi1ELi2EEEENST_IJLi2ELi1ELi128ELi1EEEENST_IJLi1ELi2ELi0ELi3EEEES1Z_NST_IJLi4ELi1ELi1ELi2EEEES1Z_NST_IJLi1ELi1ELi1ELi2EEEES1X_S1Y_S1Z_S1Z_S20_S1Z_S21_NST_IJLi0ELi1ELi2ELi3ELi4ELi5EEEELi5ELi4EEEDF16_NS5_IJPKDF16_EEEDF16_S8_S8_S9_NSB_INS5_IJSE_SG_SI_SI_SG_SG_SK_SK_SG_SN_SN_SP_SP_SR_SG_SG_NSQ_INS5_IJiNS_17integral_constantIiLi128EEEEEELb0EEENSF_INS27_IiLi2EEEEEEEENS5_IJSU_SV_SW_SX_SY_SZ_S10_S11_S12_S13_S14_S15_S16_S17_S18_NST_IJLi19EEEES1G_NST_IJLi20EEEEEEENS5_IJS1A_SZ_S10_S11_S12_S1B_S1C_S1D_S1E_S15_S16_S18_S17_S1F_S1G_NST_IJLi22EEEENST_IJLi23ELi24EEEENST_IJLi25EEEEEEENST_IJLi22ELi23ELi24ELi25EEEElEENSB_INS5_IJSR_SP_SP_SR_SG_SG_S2A_S2C_EEENS5_IJSU_SV_SW_SY_SX_SZ_S11_S10_EEENS5_IJS1M_SX_SY_S1N_S11_S12_NST_IJLi9ELi10EEEENST_IJLi11EEEEEEENST_IJLi8ELi9ELi10ELi11EEEElEENS5_IJNSB_INS5_IJSK_SP_SP_NSQ_INS5_IJiS2B_NS27_IiLi64EEEEEELb0EEES2W_EEENS5_IJSU_SV_SW_SX_SY_EEENS5_IJS1M_SX_SY_NST_IJLi5ELi6ELi7EEEENST_IJLi8ELi9ELi10EEEEEEENST_IJLi5ELi6ELi7ELi8ELi9ELi10EEEElEEEEES33_NS_31BlockToCTileMap_M00_N00_M01_N01ILi128ELi128ES1V_Lb0EEENS1_30ComputePtrOffsetOfStridedBatchILi1ELi1ELi1EvEELb1ELb0EEEvPKT0_S3B_T1_PT2_T3_T4_T5_iT6_T7_T8_T9_T10_T11_,comdat
.Lfunc_end6:
	.size	_ZN2ck16tensor_operation6device12_GLOBAL__N_137kernel_grouped_conv_fwd_dl_multiple_dINS_32GridwiseGemmDlMultipleD_km_kn_mnILi256EDF16_fNS_5TupleIJDF16_EEEDF16_NS0_12element_wise11PassThroughES8_NS7_7AddReluELNS_25InMemoryDataOperationEnumE0ENS_16TensorDescriptorINS5_IJNS_5EmbedINS5_IJiiiiEEESD_Lb0EEENS_11PassThroughIiEENS_3PadIiiiLb0EEESI_SG_SG_NSC_INS5_IJiiEEESJ_Lb0EEESK_SG_NS_23Merge_v2_magic_divisionINS5_IJiiiEEEEESN_NS_8RightPadIiiLb0EEESP_NS_7UnMergeISJ_Lb0EEESG_EEENS5_IJNS_8SequenceIJLi0EEEENST_IJLi1EEEENST_IJLi2EEEENST_IJLi3EEEENST_IJLi4EEEENST_IJLi5EEEENST_IJLi6EEEENST_IJLi7EEEENST_IJLi8EEEENST_IJLi9ELi11ELi13EEEENST_IJLi10ELi12ELi14EEEENST_IJLi15EEEENST_IJLi16EEEENST_IJLi18EEEENST_IJLi17EEEEEEENS5_IJNST_IJLi1ELi2ELi3ELi4EEEESZ_S10_S11_S12_NST_IJLi9EEEENST_IJLi10ELi11EEEENST_IJLi12ELi13EEEENST_IJLi14EEEES15_S16_S18_S17_NST_IJLi19ELi20EEEENST_IJLi21EEEEEEENST_IJLi19ELi21ELi20EEEElEENSB_INS5_IJSR_SP_SP_SR_SG_EEENS5_IJSU_SV_SW_SY_SX_EEENS5_IJNST_IJLi1ELi2EEEESX_SY_NST_IJLi5ELi6EEEES11_EEENST_IJLi5ELi7ELi6EEEElEENSB_INS5_IJSK_SP_SP_EEENS5_IJSU_SV_SW_EEENS5_IJS1M_SX_SY_EEENST_IJLi3ELi4EEEElEELi128ELi128ELi16ELi2ELi4ELi4ELi1ENST_IJLi8ELi2EEEES1W_NST_IJLi8ELi1ELi1ELi2EEEENST_IJLi2ELi1ELi128ELi1EEEENST_IJLi1ELi2ELi0ELi3EEEES1Z_NST_IJLi4ELi1ELi1ELi2EEEES1Z_NST_IJLi1ELi1ELi1ELi2EEEES1X_S1Y_S1Z_S1Z_S20_S1Z_S21_NST_IJLi0ELi1ELi2ELi3ELi4ELi5EEEELi5ELi4EEEDF16_NS5_IJPKDF16_EEEDF16_S8_S8_S9_NSB_INS5_IJSE_SG_SI_SI_SG_SG_SK_SK_SG_SN_SN_SP_SP_SR_SG_SG_NSQ_INS5_IJiNS_17integral_constantIiLi128EEEEEELb0EEENSF_INS27_IiLi2EEEEEEEENS5_IJSU_SV_SW_SX_SY_SZ_S10_S11_S12_S13_S14_S15_S16_S17_S18_NST_IJLi19EEEES1G_NST_IJLi20EEEEEEENS5_IJS1A_SZ_S10_S11_S12_S1B_S1C_S1D_S1E_S15_S16_S18_S17_S1F_S1G_NST_IJLi22EEEENST_IJLi23ELi24EEEENST_IJLi25EEEEEEENST_IJLi22ELi23ELi24ELi25EEEElEENSB_INS5_IJSR_SP_SP_SR_SG_SG_S2A_S2C_EEENS5_IJSU_SV_SW_SY_SX_SZ_S11_S10_EEENS5_IJS1M_SX_SY_S1N_S11_S12_NST_IJLi9ELi10EEEENST_IJLi11EEEEEEENST_IJLi8ELi9ELi10ELi11EEEElEENS5_IJNSB_INS5_IJSK_SP_SP_NSQ_INS5_IJiS2B_NS27_IiLi64EEEEEELb0EEES2W_EEENS5_IJSU_SV_SW_SX_SY_EEENS5_IJS1M_SX_SY_NST_IJLi5ELi6ELi7EEEENST_IJLi8ELi9ELi10EEEEEEENST_IJLi5ELi6ELi7ELi8ELi9ELi10EEEElEEEEES33_NS_31BlockToCTileMap_M00_N00_M01_N01ILi128ELi128ES1V_Lb0EEENS1_30ComputePtrOffsetOfStridedBatchILi1ELi1ELi1EvEELb1ELb0EEEvPKT0_S3B_T1_PT2_T3_T4_T5_iT6_T7_T8_T9_T10_T11_, .Lfunc_end6-_ZN2ck16tensor_operation6device12_GLOBAL__N_137kernel_grouped_conv_fwd_dl_multiple_dINS_32GridwiseGemmDlMultipleD_km_kn_mnILi256EDF16_fNS_5TupleIJDF16_EEEDF16_NS0_12element_wise11PassThroughES8_NS7_7AddReluELNS_25InMemoryDataOperationEnumE0ENS_16TensorDescriptorINS5_IJNS_5EmbedINS5_IJiiiiEEESD_Lb0EEENS_11PassThroughIiEENS_3PadIiiiLb0EEESI_SG_SG_NSC_INS5_IJiiEEESJ_Lb0EEESK_SG_NS_23Merge_v2_magic_divisionINS5_IJiiiEEEEESN_NS_8RightPadIiiLb0EEESP_NS_7UnMergeISJ_Lb0EEESG_EEENS5_IJNS_8SequenceIJLi0EEEENST_IJLi1EEEENST_IJLi2EEEENST_IJLi3EEEENST_IJLi4EEEENST_IJLi5EEEENST_IJLi6EEEENST_IJLi7EEEENST_IJLi8EEEENST_IJLi9ELi11ELi13EEEENST_IJLi10ELi12ELi14EEEENST_IJLi15EEEENST_IJLi16EEEENST_IJLi18EEEENST_IJLi17EEEEEEENS5_IJNST_IJLi1ELi2ELi3ELi4EEEESZ_S10_S11_S12_NST_IJLi9EEEENST_IJLi10ELi11EEEENST_IJLi12ELi13EEEENST_IJLi14EEEES15_S16_S18_S17_NST_IJLi19ELi20EEEENST_IJLi21EEEEEEENST_IJLi19ELi21ELi20EEEElEENSB_INS5_IJSR_SP_SP_SR_SG_EEENS5_IJSU_SV_SW_SY_SX_EEENS5_IJNST_IJLi1ELi2EEEESX_SY_NST_IJLi5ELi6EEEES11_EEENST_IJLi5ELi7ELi6EEEElEENSB_INS5_IJSK_SP_SP_EEENS5_IJSU_SV_SW_EEENS5_IJS1M_SX_SY_EEENST_IJLi3ELi4EEEElEELi128ELi128ELi16ELi2ELi4ELi4ELi1ENST_IJLi8ELi2EEEES1W_NST_IJLi8ELi1ELi1ELi2EEEENST_IJLi2ELi1ELi128ELi1EEEENST_IJLi1ELi2ELi0ELi3EEEES1Z_NST_IJLi4ELi1ELi1ELi2EEEES1Z_NST_IJLi1ELi1ELi1ELi2EEEES1X_S1Y_S1Z_S1Z_S20_S1Z_S21_NST_IJLi0ELi1ELi2ELi3ELi4ELi5EEEELi5ELi4EEEDF16_NS5_IJPKDF16_EEEDF16_S8_S8_S9_NSB_INS5_IJSE_SG_SI_SI_SG_SG_SK_SK_SG_SN_SN_SP_SP_SR_SG_SG_NSQ_INS5_IJiNS_17integral_constantIiLi128EEEEEELb0EEENSF_INS27_IiLi2EEEEEEEENS5_IJSU_SV_SW_SX_SY_SZ_S10_S11_S12_S13_S14_S15_S16_S17_S18_NST_IJLi19EEEES1G_NST_IJLi20EEEEEEENS5_IJS1A_SZ_S10_S11_S12_S1B_S1C_S1D_S1E_S15_S16_S18_S17_S1F_S1G_NST_IJLi22EEEENST_IJLi23ELi24EEEENST_IJLi25EEEEEEENST_IJLi22ELi23ELi24ELi25EEEElEENSB_INS5_IJSR_SP_SP_SR_SG_SG_S2A_S2C_EEENS5_IJSU_SV_SW_SY_SX_SZ_S11_S10_EEENS5_IJS1M_SX_SY_S1N_S11_S12_NST_IJLi9ELi10EEEENST_IJLi11EEEEEEENST_IJLi8ELi9ELi10ELi11EEEElEENS5_IJNSB_INS5_IJSK_SP_SP_NSQ_INS5_IJiS2B_NS27_IiLi64EEEEEELb0EEES2W_EEENS5_IJSU_SV_SW_SX_SY_EEENS5_IJS1M_SX_SY_NST_IJLi5ELi6ELi7EEEENST_IJLi8ELi9ELi10EEEEEEENST_IJLi5ELi6ELi7ELi8ELi9ELi10EEEElEEEEES33_NS_31BlockToCTileMap_M00_N00_M01_N01ILi128ELi128ES1V_Lb0EEENS1_30ComputePtrOffsetOfStridedBatchILi1ELi1ELi1EvEELb1ELb0EEEvPKT0_S3B_T1_PT2_T3_T4_T5_iT6_T7_T8_T9_T10_T11_
                                        ; -- End function
	.set _ZN2ck16tensor_operation6device12_GLOBAL__N_137kernel_grouped_conv_fwd_dl_multiple_dINS_32GridwiseGemmDlMultipleD_km_kn_mnILi256EDF16_fNS_5TupleIJDF16_EEEDF16_NS0_12element_wise11PassThroughES8_NS7_7AddReluELNS_25InMemoryDataOperationEnumE0ENS_16TensorDescriptorINS5_IJNS_5EmbedINS5_IJiiiiEEESD_Lb0EEENS_11PassThroughIiEENS_3PadIiiiLb0EEESI_SG_SG_NSC_INS5_IJiiEEESJ_Lb0EEESK_SG_NS_23Merge_v2_magic_divisionINS5_IJiiiEEEEESN_NS_8RightPadIiiLb0EEESP_NS_7UnMergeISJ_Lb0EEESG_EEENS5_IJNS_8SequenceIJLi0EEEENST_IJLi1EEEENST_IJLi2EEEENST_IJLi3EEEENST_IJLi4EEEENST_IJLi5EEEENST_IJLi6EEEENST_IJLi7EEEENST_IJLi8EEEENST_IJLi9ELi11ELi13EEEENST_IJLi10ELi12ELi14EEEENST_IJLi15EEEENST_IJLi16EEEENST_IJLi18EEEENST_IJLi17EEEEEEENS5_IJNST_IJLi1ELi2ELi3ELi4EEEESZ_S10_S11_S12_NST_IJLi9EEEENST_IJLi10ELi11EEEENST_IJLi12ELi13EEEENST_IJLi14EEEES15_S16_S18_S17_NST_IJLi19ELi20EEEENST_IJLi21EEEEEEENST_IJLi19ELi21ELi20EEEElEENSB_INS5_IJSR_SP_SP_SR_SG_EEENS5_IJSU_SV_SW_SY_SX_EEENS5_IJNST_IJLi1ELi2EEEESX_SY_NST_IJLi5ELi6EEEES11_EEENST_IJLi5ELi7ELi6EEEElEENSB_INS5_IJSK_SP_SP_EEENS5_IJSU_SV_SW_EEENS5_IJS1M_SX_SY_EEENST_IJLi3ELi4EEEElEELi128ELi128ELi16ELi2ELi4ELi4ELi1ENST_IJLi8ELi2EEEES1W_NST_IJLi8ELi1ELi1ELi2EEEENST_IJLi2ELi1ELi128ELi1EEEENST_IJLi1ELi2ELi0ELi3EEEES1Z_NST_IJLi4ELi1ELi1ELi2EEEES1Z_NST_IJLi1ELi1ELi1ELi2EEEES1X_S1Y_S1Z_S1Z_S20_S1Z_S21_NST_IJLi0ELi1ELi2ELi3ELi4ELi5EEEELi5ELi4EEEDF16_NS5_IJPKDF16_EEEDF16_S8_S8_S9_NSB_INS5_IJSE_SG_SI_SI_SG_SG_SK_SK_SG_SN_SN_SP_SP_SR_SG_SG_NSQ_INS5_IJiNS_17integral_constantIiLi128EEEEEELb0EEENSF_INS27_IiLi2EEEEEEEENS5_IJSU_SV_SW_SX_SY_SZ_S10_S11_S12_S13_S14_S15_S16_S17_S18_NST_IJLi19EEEES1G_NST_IJLi20EEEEEEENS5_IJS1A_SZ_S10_S11_S12_S1B_S1C_S1D_S1E_S15_S16_S18_S17_S1F_S1G_NST_IJLi22EEEENST_IJLi23ELi24EEEENST_IJLi25EEEEEEENST_IJLi22ELi23ELi24ELi25EEEElEENSB_INS5_IJSR_SP_SP_SR_SG_SG_S2A_S2C_EEENS5_IJSU_SV_SW_SY_SX_SZ_S11_S10_EEENS5_IJS1M_SX_SY_S1N_S11_S12_NST_IJLi9ELi10EEEENST_IJLi11EEEEEEENST_IJLi8ELi9ELi10ELi11EEEElEENS5_IJNSB_INS5_IJSK_SP_SP_NSQ_INS5_IJiS2B_NS27_IiLi64EEEEEELb0EEES2W_EEENS5_IJSU_SV_SW_SX_SY_EEENS5_IJS1M_SX_SY_NST_IJLi5ELi6ELi7EEEENST_IJLi8ELi9ELi10EEEEEEENST_IJLi5ELi6ELi7ELi8ELi9ELi10EEEElEEEEES33_NS_31BlockToCTileMap_M00_N00_M01_N01ILi128ELi128ES1V_Lb0EEENS1_30ComputePtrOffsetOfStridedBatchILi1ELi1ELi1EvEELb1ELb0EEEvPKT0_S3B_T1_PT2_T3_T4_T5_iT6_T7_T8_T9_T10_T11_.num_vgpr, 130
	.set _ZN2ck16tensor_operation6device12_GLOBAL__N_137kernel_grouped_conv_fwd_dl_multiple_dINS_32GridwiseGemmDlMultipleD_km_kn_mnILi256EDF16_fNS_5TupleIJDF16_EEEDF16_NS0_12element_wise11PassThroughES8_NS7_7AddReluELNS_25InMemoryDataOperationEnumE0ENS_16TensorDescriptorINS5_IJNS_5EmbedINS5_IJiiiiEEESD_Lb0EEENS_11PassThroughIiEENS_3PadIiiiLb0EEESI_SG_SG_NSC_INS5_IJiiEEESJ_Lb0EEESK_SG_NS_23Merge_v2_magic_divisionINS5_IJiiiEEEEESN_NS_8RightPadIiiLb0EEESP_NS_7UnMergeISJ_Lb0EEESG_EEENS5_IJNS_8SequenceIJLi0EEEENST_IJLi1EEEENST_IJLi2EEEENST_IJLi3EEEENST_IJLi4EEEENST_IJLi5EEEENST_IJLi6EEEENST_IJLi7EEEENST_IJLi8EEEENST_IJLi9ELi11ELi13EEEENST_IJLi10ELi12ELi14EEEENST_IJLi15EEEENST_IJLi16EEEENST_IJLi18EEEENST_IJLi17EEEEEEENS5_IJNST_IJLi1ELi2ELi3ELi4EEEESZ_S10_S11_S12_NST_IJLi9EEEENST_IJLi10ELi11EEEENST_IJLi12ELi13EEEENST_IJLi14EEEES15_S16_S18_S17_NST_IJLi19ELi20EEEENST_IJLi21EEEEEEENST_IJLi19ELi21ELi20EEEElEENSB_INS5_IJSR_SP_SP_SR_SG_EEENS5_IJSU_SV_SW_SY_SX_EEENS5_IJNST_IJLi1ELi2EEEESX_SY_NST_IJLi5ELi6EEEES11_EEENST_IJLi5ELi7ELi6EEEElEENSB_INS5_IJSK_SP_SP_EEENS5_IJSU_SV_SW_EEENS5_IJS1M_SX_SY_EEENST_IJLi3ELi4EEEElEELi128ELi128ELi16ELi2ELi4ELi4ELi1ENST_IJLi8ELi2EEEES1W_NST_IJLi8ELi1ELi1ELi2EEEENST_IJLi2ELi1ELi128ELi1EEEENST_IJLi1ELi2ELi0ELi3EEEES1Z_NST_IJLi4ELi1ELi1ELi2EEEES1Z_NST_IJLi1ELi1ELi1ELi2EEEES1X_S1Y_S1Z_S1Z_S20_S1Z_S21_NST_IJLi0ELi1ELi2ELi3ELi4ELi5EEEELi5ELi4EEEDF16_NS5_IJPKDF16_EEEDF16_S8_S8_S9_NSB_INS5_IJSE_SG_SI_SI_SG_SG_SK_SK_SG_SN_SN_SP_SP_SR_SG_SG_NSQ_INS5_IJiNS_17integral_constantIiLi128EEEEEELb0EEENSF_INS27_IiLi2EEEEEEEENS5_IJSU_SV_SW_SX_SY_SZ_S10_S11_S12_S13_S14_S15_S16_S17_S18_NST_IJLi19EEEES1G_NST_IJLi20EEEEEEENS5_IJS1A_SZ_S10_S11_S12_S1B_S1C_S1D_S1E_S15_S16_S18_S17_S1F_S1G_NST_IJLi22EEEENST_IJLi23ELi24EEEENST_IJLi25EEEEEEENST_IJLi22ELi23ELi24ELi25EEEElEENSB_INS5_IJSR_SP_SP_SR_SG_SG_S2A_S2C_EEENS5_IJSU_SV_SW_SY_SX_SZ_S11_S10_EEENS5_IJS1M_SX_SY_S1N_S11_S12_NST_IJLi9ELi10EEEENST_IJLi11EEEEEEENST_IJLi8ELi9ELi10ELi11EEEElEENS5_IJNSB_INS5_IJSK_SP_SP_NSQ_INS5_IJiS2B_NS27_IiLi64EEEEEELb0EEES2W_EEENS5_IJSU_SV_SW_SX_SY_EEENS5_IJS1M_SX_SY_NST_IJLi5ELi6ELi7EEEENST_IJLi8ELi9ELi10EEEEEEENST_IJLi5ELi6ELi7ELi8ELi9ELi10EEEElEEEEES33_NS_31BlockToCTileMap_M00_N00_M01_N01ILi128ELi128ES1V_Lb0EEENS1_30ComputePtrOffsetOfStridedBatchILi1ELi1ELi1EvEELb1ELb0EEEvPKT0_S3B_T1_PT2_T3_T4_T5_iT6_T7_T8_T9_T10_T11_.num_agpr, 0
	.set _ZN2ck16tensor_operation6device12_GLOBAL__N_137kernel_grouped_conv_fwd_dl_multiple_dINS_32GridwiseGemmDlMultipleD_km_kn_mnILi256EDF16_fNS_5TupleIJDF16_EEEDF16_NS0_12element_wise11PassThroughES8_NS7_7AddReluELNS_25InMemoryDataOperationEnumE0ENS_16TensorDescriptorINS5_IJNS_5EmbedINS5_IJiiiiEEESD_Lb0EEENS_11PassThroughIiEENS_3PadIiiiLb0EEESI_SG_SG_NSC_INS5_IJiiEEESJ_Lb0EEESK_SG_NS_23Merge_v2_magic_divisionINS5_IJiiiEEEEESN_NS_8RightPadIiiLb0EEESP_NS_7UnMergeISJ_Lb0EEESG_EEENS5_IJNS_8SequenceIJLi0EEEENST_IJLi1EEEENST_IJLi2EEEENST_IJLi3EEEENST_IJLi4EEEENST_IJLi5EEEENST_IJLi6EEEENST_IJLi7EEEENST_IJLi8EEEENST_IJLi9ELi11ELi13EEEENST_IJLi10ELi12ELi14EEEENST_IJLi15EEEENST_IJLi16EEEENST_IJLi18EEEENST_IJLi17EEEEEEENS5_IJNST_IJLi1ELi2ELi3ELi4EEEESZ_S10_S11_S12_NST_IJLi9EEEENST_IJLi10ELi11EEEENST_IJLi12ELi13EEEENST_IJLi14EEEES15_S16_S18_S17_NST_IJLi19ELi20EEEENST_IJLi21EEEEEEENST_IJLi19ELi21ELi20EEEElEENSB_INS5_IJSR_SP_SP_SR_SG_EEENS5_IJSU_SV_SW_SY_SX_EEENS5_IJNST_IJLi1ELi2EEEESX_SY_NST_IJLi5ELi6EEEES11_EEENST_IJLi5ELi7ELi6EEEElEENSB_INS5_IJSK_SP_SP_EEENS5_IJSU_SV_SW_EEENS5_IJS1M_SX_SY_EEENST_IJLi3ELi4EEEElEELi128ELi128ELi16ELi2ELi4ELi4ELi1ENST_IJLi8ELi2EEEES1W_NST_IJLi8ELi1ELi1ELi2EEEENST_IJLi2ELi1ELi128ELi1EEEENST_IJLi1ELi2ELi0ELi3EEEES1Z_NST_IJLi4ELi1ELi1ELi2EEEES1Z_NST_IJLi1ELi1ELi1ELi2EEEES1X_S1Y_S1Z_S1Z_S20_S1Z_S21_NST_IJLi0ELi1ELi2ELi3ELi4ELi5EEEELi5ELi4EEEDF16_NS5_IJPKDF16_EEEDF16_S8_S8_S9_NSB_INS5_IJSE_SG_SI_SI_SG_SG_SK_SK_SG_SN_SN_SP_SP_SR_SG_SG_NSQ_INS5_IJiNS_17integral_constantIiLi128EEEEEELb0EEENSF_INS27_IiLi2EEEEEEEENS5_IJSU_SV_SW_SX_SY_SZ_S10_S11_S12_S13_S14_S15_S16_S17_S18_NST_IJLi19EEEES1G_NST_IJLi20EEEEEEENS5_IJS1A_SZ_S10_S11_S12_S1B_S1C_S1D_S1E_S15_S16_S18_S17_S1F_S1G_NST_IJLi22EEEENST_IJLi23ELi24EEEENST_IJLi25EEEEEEENST_IJLi22ELi23ELi24ELi25EEEElEENSB_INS5_IJSR_SP_SP_SR_SG_SG_S2A_S2C_EEENS5_IJSU_SV_SW_SY_SX_SZ_S11_S10_EEENS5_IJS1M_SX_SY_S1N_S11_S12_NST_IJLi9ELi10EEEENST_IJLi11EEEEEEENST_IJLi8ELi9ELi10ELi11EEEElEENS5_IJNSB_INS5_IJSK_SP_SP_NSQ_INS5_IJiS2B_NS27_IiLi64EEEEEELb0EEES2W_EEENS5_IJSU_SV_SW_SX_SY_EEENS5_IJS1M_SX_SY_NST_IJLi5ELi6ELi7EEEENST_IJLi8ELi9ELi10EEEEEEENST_IJLi5ELi6ELi7ELi8ELi9ELi10EEEElEEEEES33_NS_31BlockToCTileMap_M00_N00_M01_N01ILi128ELi128ES1V_Lb0EEENS1_30ComputePtrOffsetOfStridedBatchILi1ELi1ELi1EvEELb1ELb0EEEvPKT0_S3B_T1_PT2_T3_T4_T5_iT6_T7_T8_T9_T10_T11_.numbered_sgpr, 82
	.set _ZN2ck16tensor_operation6device12_GLOBAL__N_137kernel_grouped_conv_fwd_dl_multiple_dINS_32GridwiseGemmDlMultipleD_km_kn_mnILi256EDF16_fNS_5TupleIJDF16_EEEDF16_NS0_12element_wise11PassThroughES8_NS7_7AddReluELNS_25InMemoryDataOperationEnumE0ENS_16TensorDescriptorINS5_IJNS_5EmbedINS5_IJiiiiEEESD_Lb0EEENS_11PassThroughIiEENS_3PadIiiiLb0EEESI_SG_SG_NSC_INS5_IJiiEEESJ_Lb0EEESK_SG_NS_23Merge_v2_magic_divisionINS5_IJiiiEEEEESN_NS_8RightPadIiiLb0EEESP_NS_7UnMergeISJ_Lb0EEESG_EEENS5_IJNS_8SequenceIJLi0EEEENST_IJLi1EEEENST_IJLi2EEEENST_IJLi3EEEENST_IJLi4EEEENST_IJLi5EEEENST_IJLi6EEEENST_IJLi7EEEENST_IJLi8EEEENST_IJLi9ELi11ELi13EEEENST_IJLi10ELi12ELi14EEEENST_IJLi15EEEENST_IJLi16EEEENST_IJLi18EEEENST_IJLi17EEEEEEENS5_IJNST_IJLi1ELi2ELi3ELi4EEEESZ_S10_S11_S12_NST_IJLi9EEEENST_IJLi10ELi11EEEENST_IJLi12ELi13EEEENST_IJLi14EEEES15_S16_S18_S17_NST_IJLi19ELi20EEEENST_IJLi21EEEEEEENST_IJLi19ELi21ELi20EEEElEENSB_INS5_IJSR_SP_SP_SR_SG_EEENS5_IJSU_SV_SW_SY_SX_EEENS5_IJNST_IJLi1ELi2EEEESX_SY_NST_IJLi5ELi6EEEES11_EEENST_IJLi5ELi7ELi6EEEElEENSB_INS5_IJSK_SP_SP_EEENS5_IJSU_SV_SW_EEENS5_IJS1M_SX_SY_EEENST_IJLi3ELi4EEEElEELi128ELi128ELi16ELi2ELi4ELi4ELi1ENST_IJLi8ELi2EEEES1W_NST_IJLi8ELi1ELi1ELi2EEEENST_IJLi2ELi1ELi128ELi1EEEENST_IJLi1ELi2ELi0ELi3EEEES1Z_NST_IJLi4ELi1ELi1ELi2EEEES1Z_NST_IJLi1ELi1ELi1ELi2EEEES1X_S1Y_S1Z_S1Z_S20_S1Z_S21_NST_IJLi0ELi1ELi2ELi3ELi4ELi5EEEELi5ELi4EEEDF16_NS5_IJPKDF16_EEEDF16_S8_S8_S9_NSB_INS5_IJSE_SG_SI_SI_SG_SG_SK_SK_SG_SN_SN_SP_SP_SR_SG_SG_NSQ_INS5_IJiNS_17integral_constantIiLi128EEEEEELb0EEENSF_INS27_IiLi2EEEEEEEENS5_IJSU_SV_SW_SX_SY_SZ_S10_S11_S12_S13_S14_S15_S16_S17_S18_NST_IJLi19EEEES1G_NST_IJLi20EEEEEEENS5_IJS1A_SZ_S10_S11_S12_S1B_S1C_S1D_S1E_S15_S16_S18_S17_S1F_S1G_NST_IJLi22EEEENST_IJLi23ELi24EEEENST_IJLi25EEEEEEENST_IJLi22ELi23ELi24ELi25EEEElEENSB_INS5_IJSR_SP_SP_SR_SG_SG_S2A_S2C_EEENS5_IJSU_SV_SW_SY_SX_SZ_S11_S10_EEENS5_IJS1M_SX_SY_S1N_S11_S12_NST_IJLi9ELi10EEEENST_IJLi11EEEEEEENST_IJLi8ELi9ELi10ELi11EEEElEENS5_IJNSB_INS5_IJSK_SP_SP_NSQ_INS5_IJiS2B_NS27_IiLi64EEEEEELb0EEES2W_EEENS5_IJSU_SV_SW_SX_SY_EEENS5_IJS1M_SX_SY_NST_IJLi5ELi6ELi7EEEENST_IJLi8ELi9ELi10EEEEEEENST_IJLi5ELi6ELi7ELi8ELi9ELi10EEEElEEEEES33_NS_31BlockToCTileMap_M00_N00_M01_N01ILi128ELi128ES1V_Lb0EEENS1_30ComputePtrOffsetOfStridedBatchILi1ELi1ELi1EvEELb1ELb0EEEvPKT0_S3B_T1_PT2_T3_T4_T5_iT6_T7_T8_T9_T10_T11_.num_named_barrier, 0
	.set _ZN2ck16tensor_operation6device12_GLOBAL__N_137kernel_grouped_conv_fwd_dl_multiple_dINS_32GridwiseGemmDlMultipleD_km_kn_mnILi256EDF16_fNS_5TupleIJDF16_EEEDF16_NS0_12element_wise11PassThroughES8_NS7_7AddReluELNS_25InMemoryDataOperationEnumE0ENS_16TensorDescriptorINS5_IJNS_5EmbedINS5_IJiiiiEEESD_Lb0EEENS_11PassThroughIiEENS_3PadIiiiLb0EEESI_SG_SG_NSC_INS5_IJiiEEESJ_Lb0EEESK_SG_NS_23Merge_v2_magic_divisionINS5_IJiiiEEEEESN_NS_8RightPadIiiLb0EEESP_NS_7UnMergeISJ_Lb0EEESG_EEENS5_IJNS_8SequenceIJLi0EEEENST_IJLi1EEEENST_IJLi2EEEENST_IJLi3EEEENST_IJLi4EEEENST_IJLi5EEEENST_IJLi6EEEENST_IJLi7EEEENST_IJLi8EEEENST_IJLi9ELi11ELi13EEEENST_IJLi10ELi12ELi14EEEENST_IJLi15EEEENST_IJLi16EEEENST_IJLi18EEEENST_IJLi17EEEEEEENS5_IJNST_IJLi1ELi2ELi3ELi4EEEESZ_S10_S11_S12_NST_IJLi9EEEENST_IJLi10ELi11EEEENST_IJLi12ELi13EEEENST_IJLi14EEEES15_S16_S18_S17_NST_IJLi19ELi20EEEENST_IJLi21EEEEEEENST_IJLi19ELi21ELi20EEEElEENSB_INS5_IJSR_SP_SP_SR_SG_EEENS5_IJSU_SV_SW_SY_SX_EEENS5_IJNST_IJLi1ELi2EEEESX_SY_NST_IJLi5ELi6EEEES11_EEENST_IJLi5ELi7ELi6EEEElEENSB_INS5_IJSK_SP_SP_EEENS5_IJSU_SV_SW_EEENS5_IJS1M_SX_SY_EEENST_IJLi3ELi4EEEElEELi128ELi128ELi16ELi2ELi4ELi4ELi1ENST_IJLi8ELi2EEEES1W_NST_IJLi8ELi1ELi1ELi2EEEENST_IJLi2ELi1ELi128ELi1EEEENST_IJLi1ELi2ELi0ELi3EEEES1Z_NST_IJLi4ELi1ELi1ELi2EEEES1Z_NST_IJLi1ELi1ELi1ELi2EEEES1X_S1Y_S1Z_S1Z_S20_S1Z_S21_NST_IJLi0ELi1ELi2ELi3ELi4ELi5EEEELi5ELi4EEEDF16_NS5_IJPKDF16_EEEDF16_S8_S8_S9_NSB_INS5_IJSE_SG_SI_SI_SG_SG_SK_SK_SG_SN_SN_SP_SP_SR_SG_SG_NSQ_INS5_IJiNS_17integral_constantIiLi128EEEEEELb0EEENSF_INS27_IiLi2EEEEEEEENS5_IJSU_SV_SW_SX_SY_SZ_S10_S11_S12_S13_S14_S15_S16_S17_S18_NST_IJLi19EEEES1G_NST_IJLi20EEEEEEENS5_IJS1A_SZ_S10_S11_S12_S1B_S1C_S1D_S1E_S15_S16_S18_S17_S1F_S1G_NST_IJLi22EEEENST_IJLi23ELi24EEEENST_IJLi25EEEEEEENST_IJLi22ELi23ELi24ELi25EEEElEENSB_INS5_IJSR_SP_SP_SR_SG_SG_S2A_S2C_EEENS5_IJSU_SV_SW_SY_SX_SZ_S11_S10_EEENS5_IJS1M_SX_SY_S1N_S11_S12_NST_IJLi9ELi10EEEENST_IJLi11EEEEEEENST_IJLi8ELi9ELi10ELi11EEEElEENS5_IJNSB_INS5_IJSK_SP_SP_NSQ_INS5_IJiS2B_NS27_IiLi64EEEEEELb0EEES2W_EEENS5_IJSU_SV_SW_SX_SY_EEENS5_IJS1M_SX_SY_NST_IJLi5ELi6ELi7EEEENST_IJLi8ELi9ELi10EEEEEEENST_IJLi5ELi6ELi7ELi8ELi9ELi10EEEElEEEEES33_NS_31BlockToCTileMap_M00_N00_M01_N01ILi128ELi128ES1V_Lb0EEENS1_30ComputePtrOffsetOfStridedBatchILi1ELi1ELi1EvEELb1ELb0EEEvPKT0_S3B_T1_PT2_T3_T4_T5_iT6_T7_T8_T9_T10_T11_.private_seg_size, 0
	.set _ZN2ck16tensor_operation6device12_GLOBAL__N_137kernel_grouped_conv_fwd_dl_multiple_dINS_32GridwiseGemmDlMultipleD_km_kn_mnILi256EDF16_fNS_5TupleIJDF16_EEEDF16_NS0_12element_wise11PassThroughES8_NS7_7AddReluELNS_25InMemoryDataOperationEnumE0ENS_16TensorDescriptorINS5_IJNS_5EmbedINS5_IJiiiiEEESD_Lb0EEENS_11PassThroughIiEENS_3PadIiiiLb0EEESI_SG_SG_NSC_INS5_IJiiEEESJ_Lb0EEESK_SG_NS_23Merge_v2_magic_divisionINS5_IJiiiEEEEESN_NS_8RightPadIiiLb0EEESP_NS_7UnMergeISJ_Lb0EEESG_EEENS5_IJNS_8SequenceIJLi0EEEENST_IJLi1EEEENST_IJLi2EEEENST_IJLi3EEEENST_IJLi4EEEENST_IJLi5EEEENST_IJLi6EEEENST_IJLi7EEEENST_IJLi8EEEENST_IJLi9ELi11ELi13EEEENST_IJLi10ELi12ELi14EEEENST_IJLi15EEEENST_IJLi16EEEENST_IJLi18EEEENST_IJLi17EEEEEEENS5_IJNST_IJLi1ELi2ELi3ELi4EEEESZ_S10_S11_S12_NST_IJLi9EEEENST_IJLi10ELi11EEEENST_IJLi12ELi13EEEENST_IJLi14EEEES15_S16_S18_S17_NST_IJLi19ELi20EEEENST_IJLi21EEEEEEENST_IJLi19ELi21ELi20EEEElEENSB_INS5_IJSR_SP_SP_SR_SG_EEENS5_IJSU_SV_SW_SY_SX_EEENS5_IJNST_IJLi1ELi2EEEESX_SY_NST_IJLi5ELi6EEEES11_EEENST_IJLi5ELi7ELi6EEEElEENSB_INS5_IJSK_SP_SP_EEENS5_IJSU_SV_SW_EEENS5_IJS1M_SX_SY_EEENST_IJLi3ELi4EEEElEELi128ELi128ELi16ELi2ELi4ELi4ELi1ENST_IJLi8ELi2EEEES1W_NST_IJLi8ELi1ELi1ELi2EEEENST_IJLi2ELi1ELi128ELi1EEEENST_IJLi1ELi2ELi0ELi3EEEES1Z_NST_IJLi4ELi1ELi1ELi2EEEES1Z_NST_IJLi1ELi1ELi1ELi2EEEES1X_S1Y_S1Z_S1Z_S20_S1Z_S21_NST_IJLi0ELi1ELi2ELi3ELi4ELi5EEEELi5ELi4EEEDF16_NS5_IJPKDF16_EEEDF16_S8_S8_S9_NSB_INS5_IJSE_SG_SI_SI_SG_SG_SK_SK_SG_SN_SN_SP_SP_SR_SG_SG_NSQ_INS5_IJiNS_17integral_constantIiLi128EEEEEELb0EEENSF_INS27_IiLi2EEEEEEEENS5_IJSU_SV_SW_SX_SY_SZ_S10_S11_S12_S13_S14_S15_S16_S17_S18_NST_IJLi19EEEES1G_NST_IJLi20EEEEEEENS5_IJS1A_SZ_S10_S11_S12_S1B_S1C_S1D_S1E_S15_S16_S18_S17_S1F_S1G_NST_IJLi22EEEENST_IJLi23ELi24EEEENST_IJLi25EEEEEEENST_IJLi22ELi23ELi24ELi25EEEElEENSB_INS5_IJSR_SP_SP_SR_SG_SG_S2A_S2C_EEENS5_IJSU_SV_SW_SY_SX_SZ_S11_S10_EEENS5_IJS1M_SX_SY_S1N_S11_S12_NST_IJLi9ELi10EEEENST_IJLi11EEEEEEENST_IJLi8ELi9ELi10ELi11EEEElEENS5_IJNSB_INS5_IJSK_SP_SP_NSQ_INS5_IJiS2B_NS27_IiLi64EEEEEELb0EEES2W_EEENS5_IJSU_SV_SW_SX_SY_EEENS5_IJS1M_SX_SY_NST_IJLi5ELi6ELi7EEEENST_IJLi8ELi9ELi10EEEEEEENST_IJLi5ELi6ELi7ELi8ELi9ELi10EEEElEEEEES33_NS_31BlockToCTileMap_M00_N00_M01_N01ILi128ELi128ES1V_Lb0EEENS1_30ComputePtrOffsetOfStridedBatchILi1ELi1ELi1EvEELb1ELb0EEEvPKT0_S3B_T1_PT2_T3_T4_T5_iT6_T7_T8_T9_T10_T11_.uses_vcc, 1
	.set _ZN2ck16tensor_operation6device12_GLOBAL__N_137kernel_grouped_conv_fwd_dl_multiple_dINS_32GridwiseGemmDlMultipleD_km_kn_mnILi256EDF16_fNS_5TupleIJDF16_EEEDF16_NS0_12element_wise11PassThroughES8_NS7_7AddReluELNS_25InMemoryDataOperationEnumE0ENS_16TensorDescriptorINS5_IJNS_5EmbedINS5_IJiiiiEEESD_Lb0EEENS_11PassThroughIiEENS_3PadIiiiLb0EEESI_SG_SG_NSC_INS5_IJiiEEESJ_Lb0EEESK_SG_NS_23Merge_v2_magic_divisionINS5_IJiiiEEEEESN_NS_8RightPadIiiLb0EEESP_NS_7UnMergeISJ_Lb0EEESG_EEENS5_IJNS_8SequenceIJLi0EEEENST_IJLi1EEEENST_IJLi2EEEENST_IJLi3EEEENST_IJLi4EEEENST_IJLi5EEEENST_IJLi6EEEENST_IJLi7EEEENST_IJLi8EEEENST_IJLi9ELi11ELi13EEEENST_IJLi10ELi12ELi14EEEENST_IJLi15EEEENST_IJLi16EEEENST_IJLi18EEEENST_IJLi17EEEEEEENS5_IJNST_IJLi1ELi2ELi3ELi4EEEESZ_S10_S11_S12_NST_IJLi9EEEENST_IJLi10ELi11EEEENST_IJLi12ELi13EEEENST_IJLi14EEEES15_S16_S18_S17_NST_IJLi19ELi20EEEENST_IJLi21EEEEEEENST_IJLi19ELi21ELi20EEEElEENSB_INS5_IJSR_SP_SP_SR_SG_EEENS5_IJSU_SV_SW_SY_SX_EEENS5_IJNST_IJLi1ELi2EEEESX_SY_NST_IJLi5ELi6EEEES11_EEENST_IJLi5ELi7ELi6EEEElEENSB_INS5_IJSK_SP_SP_EEENS5_IJSU_SV_SW_EEENS5_IJS1M_SX_SY_EEENST_IJLi3ELi4EEEElEELi128ELi128ELi16ELi2ELi4ELi4ELi1ENST_IJLi8ELi2EEEES1W_NST_IJLi8ELi1ELi1ELi2EEEENST_IJLi2ELi1ELi128ELi1EEEENST_IJLi1ELi2ELi0ELi3EEEES1Z_NST_IJLi4ELi1ELi1ELi2EEEES1Z_NST_IJLi1ELi1ELi1ELi2EEEES1X_S1Y_S1Z_S1Z_S20_S1Z_S21_NST_IJLi0ELi1ELi2ELi3ELi4ELi5EEEELi5ELi4EEEDF16_NS5_IJPKDF16_EEEDF16_S8_S8_S9_NSB_INS5_IJSE_SG_SI_SI_SG_SG_SK_SK_SG_SN_SN_SP_SP_SR_SG_SG_NSQ_INS5_IJiNS_17integral_constantIiLi128EEEEEELb0EEENSF_INS27_IiLi2EEEEEEEENS5_IJSU_SV_SW_SX_SY_SZ_S10_S11_S12_S13_S14_S15_S16_S17_S18_NST_IJLi19EEEES1G_NST_IJLi20EEEEEEENS5_IJS1A_SZ_S10_S11_S12_S1B_S1C_S1D_S1E_S15_S16_S18_S17_S1F_S1G_NST_IJLi22EEEENST_IJLi23ELi24EEEENST_IJLi25EEEEEEENST_IJLi22ELi23ELi24ELi25EEEElEENSB_INS5_IJSR_SP_SP_SR_SG_SG_S2A_S2C_EEENS5_IJSU_SV_SW_SY_SX_SZ_S11_S10_EEENS5_IJS1M_SX_SY_S1N_S11_S12_NST_IJLi9ELi10EEEENST_IJLi11EEEEEEENST_IJLi8ELi9ELi10ELi11EEEElEENS5_IJNSB_INS5_IJSK_SP_SP_NSQ_INS5_IJiS2B_NS27_IiLi64EEEEEELb0EEES2W_EEENS5_IJSU_SV_SW_SX_SY_EEENS5_IJS1M_SX_SY_NST_IJLi5ELi6ELi7EEEENST_IJLi8ELi9ELi10EEEEEEENST_IJLi5ELi6ELi7ELi8ELi9ELi10EEEElEEEEES33_NS_31BlockToCTileMap_M00_N00_M01_N01ILi128ELi128ES1V_Lb0EEENS1_30ComputePtrOffsetOfStridedBatchILi1ELi1ELi1EvEELb1ELb0EEEvPKT0_S3B_T1_PT2_T3_T4_T5_iT6_T7_T8_T9_T10_T11_.uses_flat_scratch, 0
	.set _ZN2ck16tensor_operation6device12_GLOBAL__N_137kernel_grouped_conv_fwd_dl_multiple_dINS_32GridwiseGemmDlMultipleD_km_kn_mnILi256EDF16_fNS_5TupleIJDF16_EEEDF16_NS0_12element_wise11PassThroughES8_NS7_7AddReluELNS_25InMemoryDataOperationEnumE0ENS_16TensorDescriptorINS5_IJNS_5EmbedINS5_IJiiiiEEESD_Lb0EEENS_11PassThroughIiEENS_3PadIiiiLb0EEESI_SG_SG_NSC_INS5_IJiiEEESJ_Lb0EEESK_SG_NS_23Merge_v2_magic_divisionINS5_IJiiiEEEEESN_NS_8RightPadIiiLb0EEESP_NS_7UnMergeISJ_Lb0EEESG_EEENS5_IJNS_8SequenceIJLi0EEEENST_IJLi1EEEENST_IJLi2EEEENST_IJLi3EEEENST_IJLi4EEEENST_IJLi5EEEENST_IJLi6EEEENST_IJLi7EEEENST_IJLi8EEEENST_IJLi9ELi11ELi13EEEENST_IJLi10ELi12ELi14EEEENST_IJLi15EEEENST_IJLi16EEEENST_IJLi18EEEENST_IJLi17EEEEEEENS5_IJNST_IJLi1ELi2ELi3ELi4EEEESZ_S10_S11_S12_NST_IJLi9EEEENST_IJLi10ELi11EEEENST_IJLi12ELi13EEEENST_IJLi14EEEES15_S16_S18_S17_NST_IJLi19ELi20EEEENST_IJLi21EEEEEEENST_IJLi19ELi21ELi20EEEElEENSB_INS5_IJSR_SP_SP_SR_SG_EEENS5_IJSU_SV_SW_SY_SX_EEENS5_IJNST_IJLi1ELi2EEEESX_SY_NST_IJLi5ELi6EEEES11_EEENST_IJLi5ELi7ELi6EEEElEENSB_INS5_IJSK_SP_SP_EEENS5_IJSU_SV_SW_EEENS5_IJS1M_SX_SY_EEENST_IJLi3ELi4EEEElEELi128ELi128ELi16ELi2ELi4ELi4ELi1ENST_IJLi8ELi2EEEES1W_NST_IJLi8ELi1ELi1ELi2EEEENST_IJLi2ELi1ELi128ELi1EEEENST_IJLi1ELi2ELi0ELi3EEEES1Z_NST_IJLi4ELi1ELi1ELi2EEEES1Z_NST_IJLi1ELi1ELi1ELi2EEEES1X_S1Y_S1Z_S1Z_S20_S1Z_S21_NST_IJLi0ELi1ELi2ELi3ELi4ELi5EEEELi5ELi4EEEDF16_NS5_IJPKDF16_EEEDF16_S8_S8_S9_NSB_INS5_IJSE_SG_SI_SI_SG_SG_SK_SK_SG_SN_SN_SP_SP_SR_SG_SG_NSQ_INS5_IJiNS_17integral_constantIiLi128EEEEEELb0EEENSF_INS27_IiLi2EEEEEEEENS5_IJSU_SV_SW_SX_SY_SZ_S10_S11_S12_S13_S14_S15_S16_S17_S18_NST_IJLi19EEEES1G_NST_IJLi20EEEEEEENS5_IJS1A_SZ_S10_S11_S12_S1B_S1C_S1D_S1E_S15_S16_S18_S17_S1F_S1G_NST_IJLi22EEEENST_IJLi23ELi24EEEENST_IJLi25EEEEEEENST_IJLi22ELi23ELi24ELi25EEEElEENSB_INS5_IJSR_SP_SP_SR_SG_SG_S2A_S2C_EEENS5_IJSU_SV_SW_SY_SX_SZ_S11_S10_EEENS5_IJS1M_SX_SY_S1N_S11_S12_NST_IJLi9ELi10EEEENST_IJLi11EEEEEEENST_IJLi8ELi9ELi10ELi11EEEElEENS5_IJNSB_INS5_IJSK_SP_SP_NSQ_INS5_IJiS2B_NS27_IiLi64EEEEEELb0EEES2W_EEENS5_IJSU_SV_SW_SX_SY_EEENS5_IJS1M_SX_SY_NST_IJLi5ELi6ELi7EEEENST_IJLi8ELi9ELi10EEEEEEENST_IJLi5ELi6ELi7ELi8ELi9ELi10EEEElEEEEES33_NS_31BlockToCTileMap_M00_N00_M01_N01ILi128ELi128ES1V_Lb0EEENS1_30ComputePtrOffsetOfStridedBatchILi1ELi1ELi1EvEELb1ELb0EEEvPKT0_S3B_T1_PT2_T3_T4_T5_iT6_T7_T8_T9_T10_T11_.has_dyn_sized_stack, 0
	.set _ZN2ck16tensor_operation6device12_GLOBAL__N_137kernel_grouped_conv_fwd_dl_multiple_dINS_32GridwiseGemmDlMultipleD_km_kn_mnILi256EDF16_fNS_5TupleIJDF16_EEEDF16_NS0_12element_wise11PassThroughES8_NS7_7AddReluELNS_25InMemoryDataOperationEnumE0ENS_16TensorDescriptorINS5_IJNS_5EmbedINS5_IJiiiiEEESD_Lb0EEENS_11PassThroughIiEENS_3PadIiiiLb0EEESI_SG_SG_NSC_INS5_IJiiEEESJ_Lb0EEESK_SG_NS_23Merge_v2_magic_divisionINS5_IJiiiEEEEESN_NS_8RightPadIiiLb0EEESP_NS_7UnMergeISJ_Lb0EEESG_EEENS5_IJNS_8SequenceIJLi0EEEENST_IJLi1EEEENST_IJLi2EEEENST_IJLi3EEEENST_IJLi4EEEENST_IJLi5EEEENST_IJLi6EEEENST_IJLi7EEEENST_IJLi8EEEENST_IJLi9ELi11ELi13EEEENST_IJLi10ELi12ELi14EEEENST_IJLi15EEEENST_IJLi16EEEENST_IJLi18EEEENST_IJLi17EEEEEEENS5_IJNST_IJLi1ELi2ELi3ELi4EEEESZ_S10_S11_S12_NST_IJLi9EEEENST_IJLi10ELi11EEEENST_IJLi12ELi13EEEENST_IJLi14EEEES15_S16_S18_S17_NST_IJLi19ELi20EEEENST_IJLi21EEEEEEENST_IJLi19ELi21ELi20EEEElEENSB_INS5_IJSR_SP_SP_SR_SG_EEENS5_IJSU_SV_SW_SY_SX_EEENS5_IJNST_IJLi1ELi2EEEESX_SY_NST_IJLi5ELi6EEEES11_EEENST_IJLi5ELi7ELi6EEEElEENSB_INS5_IJSK_SP_SP_EEENS5_IJSU_SV_SW_EEENS5_IJS1M_SX_SY_EEENST_IJLi3ELi4EEEElEELi128ELi128ELi16ELi2ELi4ELi4ELi1ENST_IJLi8ELi2EEEES1W_NST_IJLi8ELi1ELi1ELi2EEEENST_IJLi2ELi1ELi128ELi1EEEENST_IJLi1ELi2ELi0ELi3EEEES1Z_NST_IJLi4ELi1ELi1ELi2EEEES1Z_NST_IJLi1ELi1ELi1ELi2EEEES1X_S1Y_S1Z_S1Z_S20_S1Z_S21_NST_IJLi0ELi1ELi2ELi3ELi4ELi5EEEELi5ELi4EEEDF16_NS5_IJPKDF16_EEEDF16_S8_S8_S9_NSB_INS5_IJSE_SG_SI_SI_SG_SG_SK_SK_SG_SN_SN_SP_SP_SR_SG_SG_NSQ_INS5_IJiNS_17integral_constantIiLi128EEEEEELb0EEENSF_INS27_IiLi2EEEEEEEENS5_IJSU_SV_SW_SX_SY_SZ_S10_S11_S12_S13_S14_S15_S16_S17_S18_NST_IJLi19EEEES1G_NST_IJLi20EEEEEEENS5_IJS1A_SZ_S10_S11_S12_S1B_S1C_S1D_S1E_S15_S16_S18_S17_S1F_S1G_NST_IJLi22EEEENST_IJLi23ELi24EEEENST_IJLi25EEEEEEENST_IJLi22ELi23ELi24ELi25EEEElEENSB_INS5_IJSR_SP_SP_SR_SG_SG_S2A_S2C_EEENS5_IJSU_SV_SW_SY_SX_SZ_S11_S10_EEENS5_IJS1M_SX_SY_S1N_S11_S12_NST_IJLi9ELi10EEEENST_IJLi11EEEEEEENST_IJLi8ELi9ELi10ELi11EEEElEENS5_IJNSB_INS5_IJSK_SP_SP_NSQ_INS5_IJiS2B_NS27_IiLi64EEEEEELb0EEES2W_EEENS5_IJSU_SV_SW_SX_SY_EEENS5_IJS1M_SX_SY_NST_IJLi5ELi6ELi7EEEENST_IJLi8ELi9ELi10EEEEEEENST_IJLi5ELi6ELi7ELi8ELi9ELi10EEEElEEEEES33_NS_31BlockToCTileMap_M00_N00_M01_N01ILi128ELi128ES1V_Lb0EEENS1_30ComputePtrOffsetOfStridedBatchILi1ELi1ELi1EvEELb1ELb0EEEvPKT0_S3B_T1_PT2_T3_T4_T5_iT6_T7_T8_T9_T10_T11_.has_recursion, 0
	.set _ZN2ck16tensor_operation6device12_GLOBAL__N_137kernel_grouped_conv_fwd_dl_multiple_dINS_32GridwiseGemmDlMultipleD_km_kn_mnILi256EDF16_fNS_5TupleIJDF16_EEEDF16_NS0_12element_wise11PassThroughES8_NS7_7AddReluELNS_25InMemoryDataOperationEnumE0ENS_16TensorDescriptorINS5_IJNS_5EmbedINS5_IJiiiiEEESD_Lb0EEENS_11PassThroughIiEENS_3PadIiiiLb0EEESI_SG_SG_NSC_INS5_IJiiEEESJ_Lb0EEESK_SG_NS_23Merge_v2_magic_divisionINS5_IJiiiEEEEESN_NS_8RightPadIiiLb0EEESP_NS_7UnMergeISJ_Lb0EEESG_EEENS5_IJNS_8SequenceIJLi0EEEENST_IJLi1EEEENST_IJLi2EEEENST_IJLi3EEEENST_IJLi4EEEENST_IJLi5EEEENST_IJLi6EEEENST_IJLi7EEEENST_IJLi8EEEENST_IJLi9ELi11ELi13EEEENST_IJLi10ELi12ELi14EEEENST_IJLi15EEEENST_IJLi16EEEENST_IJLi18EEEENST_IJLi17EEEEEEENS5_IJNST_IJLi1ELi2ELi3ELi4EEEESZ_S10_S11_S12_NST_IJLi9EEEENST_IJLi10ELi11EEEENST_IJLi12ELi13EEEENST_IJLi14EEEES15_S16_S18_S17_NST_IJLi19ELi20EEEENST_IJLi21EEEEEEENST_IJLi19ELi21ELi20EEEElEENSB_INS5_IJSR_SP_SP_SR_SG_EEENS5_IJSU_SV_SW_SY_SX_EEENS5_IJNST_IJLi1ELi2EEEESX_SY_NST_IJLi5ELi6EEEES11_EEENST_IJLi5ELi7ELi6EEEElEENSB_INS5_IJSK_SP_SP_EEENS5_IJSU_SV_SW_EEENS5_IJS1M_SX_SY_EEENST_IJLi3ELi4EEEElEELi128ELi128ELi16ELi2ELi4ELi4ELi1ENST_IJLi8ELi2EEEES1W_NST_IJLi8ELi1ELi1ELi2EEEENST_IJLi2ELi1ELi128ELi1EEEENST_IJLi1ELi2ELi0ELi3EEEES1Z_NST_IJLi4ELi1ELi1ELi2EEEES1Z_NST_IJLi1ELi1ELi1ELi2EEEES1X_S1Y_S1Z_S1Z_S20_S1Z_S21_NST_IJLi0ELi1ELi2ELi3ELi4ELi5EEEELi5ELi4EEEDF16_NS5_IJPKDF16_EEEDF16_S8_S8_S9_NSB_INS5_IJSE_SG_SI_SI_SG_SG_SK_SK_SG_SN_SN_SP_SP_SR_SG_SG_NSQ_INS5_IJiNS_17integral_constantIiLi128EEEEEELb0EEENSF_INS27_IiLi2EEEEEEEENS5_IJSU_SV_SW_SX_SY_SZ_S10_S11_S12_S13_S14_S15_S16_S17_S18_NST_IJLi19EEEES1G_NST_IJLi20EEEEEEENS5_IJS1A_SZ_S10_S11_S12_S1B_S1C_S1D_S1E_S15_S16_S18_S17_S1F_S1G_NST_IJLi22EEEENST_IJLi23ELi24EEEENST_IJLi25EEEEEEENST_IJLi22ELi23ELi24ELi25EEEElEENSB_INS5_IJSR_SP_SP_SR_SG_SG_S2A_S2C_EEENS5_IJSU_SV_SW_SY_SX_SZ_S11_S10_EEENS5_IJS1M_SX_SY_S1N_S11_S12_NST_IJLi9ELi10EEEENST_IJLi11EEEEEEENST_IJLi8ELi9ELi10ELi11EEEElEENS5_IJNSB_INS5_IJSK_SP_SP_NSQ_INS5_IJiS2B_NS27_IiLi64EEEEEELb0EEES2W_EEENS5_IJSU_SV_SW_SX_SY_EEENS5_IJS1M_SX_SY_NST_IJLi5ELi6ELi7EEEENST_IJLi8ELi9ELi10EEEEEEENST_IJLi5ELi6ELi7ELi8ELi9ELi10EEEElEEEEES33_NS_31BlockToCTileMap_M00_N00_M01_N01ILi128ELi128ES1V_Lb0EEENS1_30ComputePtrOffsetOfStridedBatchILi1ELi1ELi1EvEELb1ELb0EEEvPKT0_S3B_T1_PT2_T3_T4_T5_iT6_T7_T8_T9_T10_T11_.has_indirect_call, 0
	.section	.AMDGPU.csdata,"",@progbits
; Kernel info:
; codeLenInByte = 20564
; TotalNumSgprs: 88
; NumVgprs: 130
; NumAgprs: 0
; TotalNumVgprs: 130
; ScratchSize: 0
; MemoryBound: 0
; FloatMode: 240
; IeeeMode: 1
; LDSByteSize: 32768 bytes/workgroup (compile time only)
; SGPRBlocks: 12
; VGPRBlocks: 16
; NumSGPRsForWavesPerEU: 102
; NumVGPRsForWavesPerEU: 130
; AccumOffset: 132
; Occupancy: 3
; WaveLimiterHint : 1
; COMPUTE_PGM_RSRC2:SCRATCH_EN: 0
; COMPUTE_PGM_RSRC2:USER_SGPR: 2
; COMPUTE_PGM_RSRC2:TRAP_HANDLER: 0
; COMPUTE_PGM_RSRC2:TGID_X_EN: 1
; COMPUTE_PGM_RSRC2:TGID_Y_EN: 0
; COMPUTE_PGM_RSRC2:TGID_Z_EN: 0
; COMPUTE_PGM_RSRC2:TIDIG_COMP_CNT: 0
; COMPUTE_PGM_RSRC3_GFX90A:ACCUM_OFFSET: 32
; COMPUTE_PGM_RSRC3_GFX90A:TG_SPLIT: 0
	.section	.text._ZN2ck16tensor_operation6device12_GLOBAL__N_137kernel_grouped_conv_fwd_dl_multiple_dINS_32GridwiseGemmDlMultipleD_km_kn_mnILi256EDF16_fNS_5TupleIJDF16_EEEDF16_NS0_12element_wise11PassThroughES8_NS7_7AddReluELNS_25InMemoryDataOperationEnumE0ENS_16TensorDescriptorINS5_IJNS_5EmbedINS5_IJiiiiEEESD_Lb0EEENS_11PassThroughIiEENS_3PadIiiiLb0EEESI_SG_SG_NSC_INS5_IJiiEEESJ_Lb0EEESK_SG_NS_23Merge_v2_magic_divisionINS5_IJiiiEEEEESN_NS_8RightPadIiiLb0EEESP_NS_7UnMergeISJ_Lb0EEESG_EEENS5_IJNS_8SequenceIJLi0EEEENST_IJLi1EEEENST_IJLi2EEEENST_IJLi3EEEENST_IJLi4EEEENST_IJLi5EEEENST_IJLi6EEEENST_IJLi7EEEENST_IJLi8EEEENST_IJLi9ELi11ELi13EEEENST_IJLi10ELi12ELi14EEEENST_IJLi15EEEENST_IJLi16EEEENST_IJLi18EEEENST_IJLi17EEEEEEENS5_IJNST_IJLi1ELi2ELi3ELi4EEEESZ_S10_S11_S12_NST_IJLi9EEEENST_IJLi10ELi11EEEENST_IJLi12ELi13EEEENST_IJLi14EEEES15_S16_S18_S17_NST_IJLi19ELi20EEEENST_IJLi21EEEEEEENST_IJLi19ELi21ELi20EEEElEENSB_INS5_IJSR_SP_SP_SR_SG_EEENS5_IJSU_SV_SW_SY_SX_EEENS5_IJNST_IJLi1ELi2EEEESX_SY_NST_IJLi5ELi6EEEES11_EEENST_IJLi5ELi7ELi6EEEElEENSB_INS5_IJSK_SP_SP_EEENS5_IJSU_SV_SW_EEENS5_IJS1M_SX_SY_EEENST_IJLi3ELi4EEEElEELi128ELi128ELi16ELi2ELi4ELi4ELi1ENST_IJLi8ELi2EEEES1W_NST_IJLi8ELi1ELi1ELi2EEEENST_IJLi2ELi1ELi128ELi1EEEENST_IJLi1ELi2ELi0ELi3EEEES1Z_NST_IJLi4ELi1ELi1ELi2EEEES1Z_NST_IJLi1ELi1ELi1ELi2EEEES1X_S1Y_S1Z_S1Z_S20_S1Z_S21_NST_IJLi0ELi1ELi2ELi3ELi4ELi5EEEELi5ELi4EEEDF16_NS5_IJPKDF16_EEEDF16_S8_S8_S9_NSB_INS5_IJSE_SG_SI_SI_SG_SG_SK_SK_SG_SN_SN_SP_SP_SR_SG_SG_NSQ_INS5_IJiNS_17integral_constantIiLi128EEEEEELb0EEENSF_INS27_IiLi2EEEEEEEENS5_IJSU_SV_SW_SX_SY_SZ_S10_S11_S12_S13_S14_S15_S16_S17_S18_NST_IJLi19EEEES1G_NST_IJLi20EEEEEEENS5_IJS1A_SZ_S10_S11_S12_S1B_S1C_S1D_S1E_S15_S16_S18_S17_S1F_S1G_NST_IJLi22EEEENST_IJLi23ELi24EEEENST_IJLi25EEEEEEENST_IJLi22ELi23ELi24ELi25EEEElEENSB_INS5_IJSR_SP_SP_SR_SG_SG_S2A_S2C_EEENS5_IJSU_SV_SW_SY_SX_SZ_S11_S10_EEENS5_IJS1M_SX_SY_S1N_S11_S12_NST_IJLi9ELi10EEEENST_IJLi11EEEEEEENST_IJLi8ELi9ELi10ELi11EEEElEENS5_IJNSB_INS5_IJSK_SP_SP_NSQ_INS5_IJiS2B_NS27_IiLi64EEEEEELb0EEES2W_EEENS5_IJSU_SV_SW_SX_SY_EEENS5_IJS1M_SX_SY_NST_IJLi5ELi6ELi7EEEENST_IJLi8ELi9ELi10EEEEEEENST_IJLi5ELi6ELi7ELi8ELi9ELi10EEEElEEEEES33_NS_31BlockToCTileMap_M00_N00_M01_N01ILi128ELi128ES1V_Lb0EEENS1_30ComputePtrOffsetOfStridedBatchILi1ELi1ELi1EvEELb0ELb1EEEvPKT0_S3B_T1_PT2_T3_T4_T5_iT6_T7_T8_T9_T10_T11_,"axG",@progbits,_ZN2ck16tensor_operation6device12_GLOBAL__N_137kernel_grouped_conv_fwd_dl_multiple_dINS_32GridwiseGemmDlMultipleD_km_kn_mnILi256EDF16_fNS_5TupleIJDF16_EEEDF16_NS0_12element_wise11PassThroughES8_NS7_7AddReluELNS_25InMemoryDataOperationEnumE0ENS_16TensorDescriptorINS5_IJNS_5EmbedINS5_IJiiiiEEESD_Lb0EEENS_11PassThroughIiEENS_3PadIiiiLb0EEESI_SG_SG_NSC_INS5_IJiiEEESJ_Lb0EEESK_SG_NS_23Merge_v2_magic_divisionINS5_IJiiiEEEEESN_NS_8RightPadIiiLb0EEESP_NS_7UnMergeISJ_Lb0EEESG_EEENS5_IJNS_8SequenceIJLi0EEEENST_IJLi1EEEENST_IJLi2EEEENST_IJLi3EEEENST_IJLi4EEEENST_IJLi5EEEENST_IJLi6EEEENST_IJLi7EEEENST_IJLi8EEEENST_IJLi9ELi11ELi13EEEENST_IJLi10ELi12ELi14EEEENST_IJLi15EEEENST_IJLi16EEEENST_IJLi18EEEENST_IJLi17EEEEEEENS5_IJNST_IJLi1ELi2ELi3ELi4EEEESZ_S10_S11_S12_NST_IJLi9EEEENST_IJLi10ELi11EEEENST_IJLi12ELi13EEEENST_IJLi14EEEES15_S16_S18_S17_NST_IJLi19ELi20EEEENST_IJLi21EEEEEEENST_IJLi19ELi21ELi20EEEElEENSB_INS5_IJSR_SP_SP_SR_SG_EEENS5_IJSU_SV_SW_SY_SX_EEENS5_IJNST_IJLi1ELi2EEEESX_SY_NST_IJLi5ELi6EEEES11_EEENST_IJLi5ELi7ELi6EEEElEENSB_INS5_IJSK_SP_SP_EEENS5_IJSU_SV_SW_EEENS5_IJS1M_SX_SY_EEENST_IJLi3ELi4EEEElEELi128ELi128ELi16ELi2ELi4ELi4ELi1ENST_IJLi8ELi2EEEES1W_NST_IJLi8ELi1ELi1ELi2EEEENST_IJLi2ELi1ELi128ELi1EEEENST_IJLi1ELi2ELi0ELi3EEEES1Z_NST_IJLi4ELi1ELi1ELi2EEEES1Z_NST_IJLi1ELi1ELi1ELi2EEEES1X_S1Y_S1Z_S1Z_S20_S1Z_S21_NST_IJLi0ELi1ELi2ELi3ELi4ELi5EEEELi5ELi4EEEDF16_NS5_IJPKDF16_EEEDF16_S8_S8_S9_NSB_INS5_IJSE_SG_SI_SI_SG_SG_SK_SK_SG_SN_SN_SP_SP_SR_SG_SG_NSQ_INS5_IJiNS_17integral_constantIiLi128EEEEEELb0EEENSF_INS27_IiLi2EEEEEEEENS5_IJSU_SV_SW_SX_SY_SZ_S10_S11_S12_S13_S14_S15_S16_S17_S18_NST_IJLi19EEEES1G_NST_IJLi20EEEEEEENS5_IJS1A_SZ_S10_S11_S12_S1B_S1C_S1D_S1E_S15_S16_S18_S17_S1F_S1G_NST_IJLi22EEEENST_IJLi23ELi24EEEENST_IJLi25EEEEEEENST_IJLi22ELi23ELi24ELi25EEEElEENSB_INS5_IJSR_SP_SP_SR_SG_SG_S2A_S2C_EEENS5_IJSU_SV_SW_SY_SX_SZ_S11_S10_EEENS5_IJS1M_SX_SY_S1N_S11_S12_NST_IJLi9ELi10EEEENST_IJLi11EEEEEEENST_IJLi8ELi9ELi10ELi11EEEElEENS5_IJNSB_INS5_IJSK_SP_SP_NSQ_INS5_IJiS2B_NS27_IiLi64EEEEEELb0EEES2W_EEENS5_IJSU_SV_SW_SX_SY_EEENS5_IJS1M_SX_SY_NST_IJLi5ELi6ELi7EEEENST_IJLi8ELi9ELi10EEEEEEENST_IJLi5ELi6ELi7ELi8ELi9ELi10EEEElEEEEES33_NS_31BlockToCTileMap_M00_N00_M01_N01ILi128ELi128ES1V_Lb0EEENS1_30ComputePtrOffsetOfStridedBatchILi1ELi1ELi1EvEELb0ELb1EEEvPKT0_S3B_T1_PT2_T3_T4_T5_iT6_T7_T8_T9_T10_T11_,comdat
	.globl	_ZN2ck16tensor_operation6device12_GLOBAL__N_137kernel_grouped_conv_fwd_dl_multiple_dINS_32GridwiseGemmDlMultipleD_km_kn_mnILi256EDF16_fNS_5TupleIJDF16_EEEDF16_NS0_12element_wise11PassThroughES8_NS7_7AddReluELNS_25InMemoryDataOperationEnumE0ENS_16TensorDescriptorINS5_IJNS_5EmbedINS5_IJiiiiEEESD_Lb0EEENS_11PassThroughIiEENS_3PadIiiiLb0EEESI_SG_SG_NSC_INS5_IJiiEEESJ_Lb0EEESK_SG_NS_23Merge_v2_magic_divisionINS5_IJiiiEEEEESN_NS_8RightPadIiiLb0EEESP_NS_7UnMergeISJ_Lb0EEESG_EEENS5_IJNS_8SequenceIJLi0EEEENST_IJLi1EEEENST_IJLi2EEEENST_IJLi3EEEENST_IJLi4EEEENST_IJLi5EEEENST_IJLi6EEEENST_IJLi7EEEENST_IJLi8EEEENST_IJLi9ELi11ELi13EEEENST_IJLi10ELi12ELi14EEEENST_IJLi15EEEENST_IJLi16EEEENST_IJLi18EEEENST_IJLi17EEEEEEENS5_IJNST_IJLi1ELi2ELi3ELi4EEEESZ_S10_S11_S12_NST_IJLi9EEEENST_IJLi10ELi11EEEENST_IJLi12ELi13EEEENST_IJLi14EEEES15_S16_S18_S17_NST_IJLi19ELi20EEEENST_IJLi21EEEEEEENST_IJLi19ELi21ELi20EEEElEENSB_INS5_IJSR_SP_SP_SR_SG_EEENS5_IJSU_SV_SW_SY_SX_EEENS5_IJNST_IJLi1ELi2EEEESX_SY_NST_IJLi5ELi6EEEES11_EEENST_IJLi5ELi7ELi6EEEElEENSB_INS5_IJSK_SP_SP_EEENS5_IJSU_SV_SW_EEENS5_IJS1M_SX_SY_EEENST_IJLi3ELi4EEEElEELi128ELi128ELi16ELi2ELi4ELi4ELi1ENST_IJLi8ELi2EEEES1W_NST_IJLi8ELi1ELi1ELi2EEEENST_IJLi2ELi1ELi128ELi1EEEENST_IJLi1ELi2ELi0ELi3EEEES1Z_NST_IJLi4ELi1ELi1ELi2EEEES1Z_NST_IJLi1ELi1ELi1ELi2EEEES1X_S1Y_S1Z_S1Z_S20_S1Z_S21_NST_IJLi0ELi1ELi2ELi3ELi4ELi5EEEELi5ELi4EEEDF16_NS5_IJPKDF16_EEEDF16_S8_S8_S9_NSB_INS5_IJSE_SG_SI_SI_SG_SG_SK_SK_SG_SN_SN_SP_SP_SR_SG_SG_NSQ_INS5_IJiNS_17integral_constantIiLi128EEEEEELb0EEENSF_INS27_IiLi2EEEEEEEENS5_IJSU_SV_SW_SX_SY_SZ_S10_S11_S12_S13_S14_S15_S16_S17_S18_NST_IJLi19EEEES1G_NST_IJLi20EEEEEEENS5_IJS1A_SZ_S10_S11_S12_S1B_S1C_S1D_S1E_S15_S16_S18_S17_S1F_S1G_NST_IJLi22EEEENST_IJLi23ELi24EEEENST_IJLi25EEEEEEENST_IJLi22ELi23ELi24ELi25EEEElEENSB_INS5_IJSR_SP_SP_SR_SG_SG_S2A_S2C_EEENS5_IJSU_SV_SW_SY_SX_SZ_S11_S10_EEENS5_IJS1M_SX_SY_S1N_S11_S12_NST_IJLi9ELi10EEEENST_IJLi11EEEEEEENST_IJLi8ELi9ELi10ELi11EEEElEENS5_IJNSB_INS5_IJSK_SP_SP_NSQ_INS5_IJiS2B_NS27_IiLi64EEEEEELb0EEES2W_EEENS5_IJSU_SV_SW_SX_SY_EEENS5_IJS1M_SX_SY_NST_IJLi5ELi6ELi7EEEENST_IJLi8ELi9ELi10EEEEEEENST_IJLi5ELi6ELi7ELi8ELi9ELi10EEEElEEEEES33_NS_31BlockToCTileMap_M00_N00_M01_N01ILi128ELi128ES1V_Lb0EEENS1_30ComputePtrOffsetOfStridedBatchILi1ELi1ELi1EvEELb0ELb1EEEvPKT0_S3B_T1_PT2_T3_T4_T5_iT6_T7_T8_T9_T10_T11_ ; -- Begin function _ZN2ck16tensor_operation6device12_GLOBAL__N_137kernel_grouped_conv_fwd_dl_multiple_dINS_32GridwiseGemmDlMultipleD_km_kn_mnILi256EDF16_fNS_5TupleIJDF16_EEEDF16_NS0_12element_wise11PassThroughES8_NS7_7AddReluELNS_25InMemoryDataOperationEnumE0ENS_16TensorDescriptorINS5_IJNS_5EmbedINS5_IJiiiiEEESD_Lb0EEENS_11PassThroughIiEENS_3PadIiiiLb0EEESI_SG_SG_NSC_INS5_IJiiEEESJ_Lb0EEESK_SG_NS_23Merge_v2_magic_divisionINS5_IJiiiEEEEESN_NS_8RightPadIiiLb0EEESP_NS_7UnMergeISJ_Lb0EEESG_EEENS5_IJNS_8SequenceIJLi0EEEENST_IJLi1EEEENST_IJLi2EEEENST_IJLi3EEEENST_IJLi4EEEENST_IJLi5EEEENST_IJLi6EEEENST_IJLi7EEEENST_IJLi8EEEENST_IJLi9ELi11ELi13EEEENST_IJLi10ELi12ELi14EEEENST_IJLi15EEEENST_IJLi16EEEENST_IJLi18EEEENST_IJLi17EEEEEEENS5_IJNST_IJLi1ELi2ELi3ELi4EEEESZ_S10_S11_S12_NST_IJLi9EEEENST_IJLi10ELi11EEEENST_IJLi12ELi13EEEENST_IJLi14EEEES15_S16_S18_S17_NST_IJLi19ELi20EEEENST_IJLi21EEEEEEENST_IJLi19ELi21ELi20EEEElEENSB_INS5_IJSR_SP_SP_SR_SG_EEENS5_IJSU_SV_SW_SY_SX_EEENS5_IJNST_IJLi1ELi2EEEESX_SY_NST_IJLi5ELi6EEEES11_EEENST_IJLi5ELi7ELi6EEEElEENSB_INS5_IJSK_SP_SP_EEENS5_IJSU_SV_SW_EEENS5_IJS1M_SX_SY_EEENST_IJLi3ELi4EEEElEELi128ELi128ELi16ELi2ELi4ELi4ELi1ENST_IJLi8ELi2EEEES1W_NST_IJLi8ELi1ELi1ELi2EEEENST_IJLi2ELi1ELi128ELi1EEEENST_IJLi1ELi2ELi0ELi3EEEES1Z_NST_IJLi4ELi1ELi1ELi2EEEES1Z_NST_IJLi1ELi1ELi1ELi2EEEES1X_S1Y_S1Z_S1Z_S20_S1Z_S21_NST_IJLi0ELi1ELi2ELi3ELi4ELi5EEEELi5ELi4EEEDF16_NS5_IJPKDF16_EEEDF16_S8_S8_S9_NSB_INS5_IJSE_SG_SI_SI_SG_SG_SK_SK_SG_SN_SN_SP_SP_SR_SG_SG_NSQ_INS5_IJiNS_17integral_constantIiLi128EEEEEELb0EEENSF_INS27_IiLi2EEEEEEEENS5_IJSU_SV_SW_SX_SY_SZ_S10_S11_S12_S13_S14_S15_S16_S17_S18_NST_IJLi19EEEES1G_NST_IJLi20EEEEEEENS5_IJS1A_SZ_S10_S11_S12_S1B_S1C_S1D_S1E_S15_S16_S18_S17_S1F_S1G_NST_IJLi22EEEENST_IJLi23ELi24EEEENST_IJLi25EEEEEEENST_IJLi22ELi23ELi24ELi25EEEElEENSB_INS5_IJSR_SP_SP_SR_SG_SG_S2A_S2C_EEENS5_IJSU_SV_SW_SY_SX_SZ_S11_S10_EEENS5_IJS1M_SX_SY_S1N_S11_S12_NST_IJLi9ELi10EEEENST_IJLi11EEEEEEENST_IJLi8ELi9ELi10ELi11EEEElEENS5_IJNSB_INS5_IJSK_SP_SP_NSQ_INS5_IJiS2B_NS27_IiLi64EEEEEELb0EEES2W_EEENS5_IJSU_SV_SW_SX_SY_EEENS5_IJS1M_SX_SY_NST_IJLi5ELi6ELi7EEEENST_IJLi8ELi9ELi10EEEEEEENST_IJLi5ELi6ELi7ELi8ELi9ELi10EEEElEEEEES33_NS_31BlockToCTileMap_M00_N00_M01_N01ILi128ELi128ES1V_Lb0EEENS1_30ComputePtrOffsetOfStridedBatchILi1ELi1ELi1EvEELb0ELb1EEEvPKT0_S3B_T1_PT2_T3_T4_T5_iT6_T7_T8_T9_T10_T11_
	.p2align	8
	.type	_ZN2ck16tensor_operation6device12_GLOBAL__N_137kernel_grouped_conv_fwd_dl_multiple_dINS_32GridwiseGemmDlMultipleD_km_kn_mnILi256EDF16_fNS_5TupleIJDF16_EEEDF16_NS0_12element_wise11PassThroughES8_NS7_7AddReluELNS_25InMemoryDataOperationEnumE0ENS_16TensorDescriptorINS5_IJNS_5EmbedINS5_IJiiiiEEESD_Lb0EEENS_11PassThroughIiEENS_3PadIiiiLb0EEESI_SG_SG_NSC_INS5_IJiiEEESJ_Lb0EEESK_SG_NS_23Merge_v2_magic_divisionINS5_IJiiiEEEEESN_NS_8RightPadIiiLb0EEESP_NS_7UnMergeISJ_Lb0EEESG_EEENS5_IJNS_8SequenceIJLi0EEEENST_IJLi1EEEENST_IJLi2EEEENST_IJLi3EEEENST_IJLi4EEEENST_IJLi5EEEENST_IJLi6EEEENST_IJLi7EEEENST_IJLi8EEEENST_IJLi9ELi11ELi13EEEENST_IJLi10ELi12ELi14EEEENST_IJLi15EEEENST_IJLi16EEEENST_IJLi18EEEENST_IJLi17EEEEEEENS5_IJNST_IJLi1ELi2ELi3ELi4EEEESZ_S10_S11_S12_NST_IJLi9EEEENST_IJLi10ELi11EEEENST_IJLi12ELi13EEEENST_IJLi14EEEES15_S16_S18_S17_NST_IJLi19ELi20EEEENST_IJLi21EEEEEEENST_IJLi19ELi21ELi20EEEElEENSB_INS5_IJSR_SP_SP_SR_SG_EEENS5_IJSU_SV_SW_SY_SX_EEENS5_IJNST_IJLi1ELi2EEEESX_SY_NST_IJLi5ELi6EEEES11_EEENST_IJLi5ELi7ELi6EEEElEENSB_INS5_IJSK_SP_SP_EEENS5_IJSU_SV_SW_EEENS5_IJS1M_SX_SY_EEENST_IJLi3ELi4EEEElEELi128ELi128ELi16ELi2ELi4ELi4ELi1ENST_IJLi8ELi2EEEES1W_NST_IJLi8ELi1ELi1ELi2EEEENST_IJLi2ELi1ELi128ELi1EEEENST_IJLi1ELi2ELi0ELi3EEEES1Z_NST_IJLi4ELi1ELi1ELi2EEEES1Z_NST_IJLi1ELi1ELi1ELi2EEEES1X_S1Y_S1Z_S1Z_S20_S1Z_S21_NST_IJLi0ELi1ELi2ELi3ELi4ELi5EEEELi5ELi4EEEDF16_NS5_IJPKDF16_EEEDF16_S8_S8_S9_NSB_INS5_IJSE_SG_SI_SI_SG_SG_SK_SK_SG_SN_SN_SP_SP_SR_SG_SG_NSQ_INS5_IJiNS_17integral_constantIiLi128EEEEEELb0EEENSF_INS27_IiLi2EEEEEEEENS5_IJSU_SV_SW_SX_SY_SZ_S10_S11_S12_S13_S14_S15_S16_S17_S18_NST_IJLi19EEEES1G_NST_IJLi20EEEEEEENS5_IJS1A_SZ_S10_S11_S12_S1B_S1C_S1D_S1E_S15_S16_S18_S17_S1F_S1G_NST_IJLi22EEEENST_IJLi23ELi24EEEENST_IJLi25EEEEEEENST_IJLi22ELi23ELi24ELi25EEEElEENSB_INS5_IJSR_SP_SP_SR_SG_SG_S2A_S2C_EEENS5_IJSU_SV_SW_SY_SX_SZ_S11_S10_EEENS5_IJS1M_SX_SY_S1N_S11_S12_NST_IJLi9ELi10EEEENST_IJLi11EEEEEEENST_IJLi8ELi9ELi10ELi11EEEElEENS5_IJNSB_INS5_IJSK_SP_SP_NSQ_INS5_IJiS2B_NS27_IiLi64EEEEEELb0EEES2W_EEENS5_IJSU_SV_SW_SX_SY_EEENS5_IJS1M_SX_SY_NST_IJLi5ELi6ELi7EEEENST_IJLi8ELi9ELi10EEEEEEENST_IJLi5ELi6ELi7ELi8ELi9ELi10EEEElEEEEES33_NS_31BlockToCTileMap_M00_N00_M01_N01ILi128ELi128ES1V_Lb0EEENS1_30ComputePtrOffsetOfStridedBatchILi1ELi1ELi1EvEELb0ELb1EEEvPKT0_S3B_T1_PT2_T3_T4_T5_iT6_T7_T8_T9_T10_T11_,@function
_ZN2ck16tensor_operation6device12_GLOBAL__N_137kernel_grouped_conv_fwd_dl_multiple_dINS_32GridwiseGemmDlMultipleD_km_kn_mnILi256EDF16_fNS_5TupleIJDF16_EEEDF16_NS0_12element_wise11PassThroughES8_NS7_7AddReluELNS_25InMemoryDataOperationEnumE0ENS_16TensorDescriptorINS5_IJNS_5EmbedINS5_IJiiiiEEESD_Lb0EEENS_11PassThroughIiEENS_3PadIiiiLb0EEESI_SG_SG_NSC_INS5_IJiiEEESJ_Lb0EEESK_SG_NS_23Merge_v2_magic_divisionINS5_IJiiiEEEEESN_NS_8RightPadIiiLb0EEESP_NS_7UnMergeISJ_Lb0EEESG_EEENS5_IJNS_8SequenceIJLi0EEEENST_IJLi1EEEENST_IJLi2EEEENST_IJLi3EEEENST_IJLi4EEEENST_IJLi5EEEENST_IJLi6EEEENST_IJLi7EEEENST_IJLi8EEEENST_IJLi9ELi11ELi13EEEENST_IJLi10ELi12ELi14EEEENST_IJLi15EEEENST_IJLi16EEEENST_IJLi18EEEENST_IJLi17EEEEEEENS5_IJNST_IJLi1ELi2ELi3ELi4EEEESZ_S10_S11_S12_NST_IJLi9EEEENST_IJLi10ELi11EEEENST_IJLi12ELi13EEEENST_IJLi14EEEES15_S16_S18_S17_NST_IJLi19ELi20EEEENST_IJLi21EEEEEEENST_IJLi19ELi21ELi20EEEElEENSB_INS5_IJSR_SP_SP_SR_SG_EEENS5_IJSU_SV_SW_SY_SX_EEENS5_IJNST_IJLi1ELi2EEEESX_SY_NST_IJLi5ELi6EEEES11_EEENST_IJLi5ELi7ELi6EEEElEENSB_INS5_IJSK_SP_SP_EEENS5_IJSU_SV_SW_EEENS5_IJS1M_SX_SY_EEENST_IJLi3ELi4EEEElEELi128ELi128ELi16ELi2ELi4ELi4ELi1ENST_IJLi8ELi2EEEES1W_NST_IJLi8ELi1ELi1ELi2EEEENST_IJLi2ELi1ELi128ELi1EEEENST_IJLi1ELi2ELi0ELi3EEEES1Z_NST_IJLi4ELi1ELi1ELi2EEEES1Z_NST_IJLi1ELi1ELi1ELi2EEEES1X_S1Y_S1Z_S1Z_S20_S1Z_S21_NST_IJLi0ELi1ELi2ELi3ELi4ELi5EEEELi5ELi4EEEDF16_NS5_IJPKDF16_EEEDF16_S8_S8_S9_NSB_INS5_IJSE_SG_SI_SI_SG_SG_SK_SK_SG_SN_SN_SP_SP_SR_SG_SG_NSQ_INS5_IJiNS_17integral_constantIiLi128EEEEEELb0EEENSF_INS27_IiLi2EEEEEEEENS5_IJSU_SV_SW_SX_SY_SZ_S10_S11_S12_S13_S14_S15_S16_S17_S18_NST_IJLi19EEEES1G_NST_IJLi20EEEEEEENS5_IJS1A_SZ_S10_S11_S12_S1B_S1C_S1D_S1E_S15_S16_S18_S17_S1F_S1G_NST_IJLi22EEEENST_IJLi23ELi24EEEENST_IJLi25EEEEEEENST_IJLi22ELi23ELi24ELi25EEEElEENSB_INS5_IJSR_SP_SP_SR_SG_SG_S2A_S2C_EEENS5_IJSU_SV_SW_SY_SX_SZ_S11_S10_EEENS5_IJS1M_SX_SY_S1N_S11_S12_NST_IJLi9ELi10EEEENST_IJLi11EEEEEEENST_IJLi8ELi9ELi10ELi11EEEElEENS5_IJNSB_INS5_IJSK_SP_SP_NSQ_INS5_IJiS2B_NS27_IiLi64EEEEEELb0EEES2W_EEENS5_IJSU_SV_SW_SX_SY_EEENS5_IJS1M_SX_SY_NST_IJLi5ELi6ELi7EEEENST_IJLi8ELi9ELi10EEEEEEENST_IJLi5ELi6ELi7ELi8ELi9ELi10EEEElEEEEES33_NS_31BlockToCTileMap_M00_N00_M01_N01ILi128ELi128ES1V_Lb0EEENS1_30ComputePtrOffsetOfStridedBatchILi1ELi1ELi1EvEELb0ELb1EEEvPKT0_S3B_T1_PT2_T3_T4_T5_iT6_T7_T8_T9_T10_T11_: ; @_ZN2ck16tensor_operation6device12_GLOBAL__N_137kernel_grouped_conv_fwd_dl_multiple_dINS_32GridwiseGemmDlMultipleD_km_kn_mnILi256EDF16_fNS_5TupleIJDF16_EEEDF16_NS0_12element_wise11PassThroughES8_NS7_7AddReluELNS_25InMemoryDataOperationEnumE0ENS_16TensorDescriptorINS5_IJNS_5EmbedINS5_IJiiiiEEESD_Lb0EEENS_11PassThroughIiEENS_3PadIiiiLb0EEESI_SG_SG_NSC_INS5_IJiiEEESJ_Lb0EEESK_SG_NS_23Merge_v2_magic_divisionINS5_IJiiiEEEEESN_NS_8RightPadIiiLb0EEESP_NS_7UnMergeISJ_Lb0EEESG_EEENS5_IJNS_8SequenceIJLi0EEEENST_IJLi1EEEENST_IJLi2EEEENST_IJLi3EEEENST_IJLi4EEEENST_IJLi5EEEENST_IJLi6EEEENST_IJLi7EEEENST_IJLi8EEEENST_IJLi9ELi11ELi13EEEENST_IJLi10ELi12ELi14EEEENST_IJLi15EEEENST_IJLi16EEEENST_IJLi18EEEENST_IJLi17EEEEEEENS5_IJNST_IJLi1ELi2ELi3ELi4EEEESZ_S10_S11_S12_NST_IJLi9EEEENST_IJLi10ELi11EEEENST_IJLi12ELi13EEEENST_IJLi14EEEES15_S16_S18_S17_NST_IJLi19ELi20EEEENST_IJLi21EEEEEEENST_IJLi19ELi21ELi20EEEElEENSB_INS5_IJSR_SP_SP_SR_SG_EEENS5_IJSU_SV_SW_SY_SX_EEENS5_IJNST_IJLi1ELi2EEEESX_SY_NST_IJLi5ELi6EEEES11_EEENST_IJLi5ELi7ELi6EEEElEENSB_INS5_IJSK_SP_SP_EEENS5_IJSU_SV_SW_EEENS5_IJS1M_SX_SY_EEENST_IJLi3ELi4EEEElEELi128ELi128ELi16ELi2ELi4ELi4ELi1ENST_IJLi8ELi2EEEES1W_NST_IJLi8ELi1ELi1ELi2EEEENST_IJLi2ELi1ELi128ELi1EEEENST_IJLi1ELi2ELi0ELi3EEEES1Z_NST_IJLi4ELi1ELi1ELi2EEEES1Z_NST_IJLi1ELi1ELi1ELi2EEEES1X_S1Y_S1Z_S1Z_S20_S1Z_S21_NST_IJLi0ELi1ELi2ELi3ELi4ELi5EEEELi5ELi4EEEDF16_NS5_IJPKDF16_EEEDF16_S8_S8_S9_NSB_INS5_IJSE_SG_SI_SI_SG_SG_SK_SK_SG_SN_SN_SP_SP_SR_SG_SG_NSQ_INS5_IJiNS_17integral_constantIiLi128EEEEEELb0EEENSF_INS27_IiLi2EEEEEEEENS5_IJSU_SV_SW_SX_SY_SZ_S10_S11_S12_S13_S14_S15_S16_S17_S18_NST_IJLi19EEEES1G_NST_IJLi20EEEEEEENS5_IJS1A_SZ_S10_S11_S12_S1B_S1C_S1D_S1E_S15_S16_S18_S17_S1F_S1G_NST_IJLi22EEEENST_IJLi23ELi24EEEENST_IJLi25EEEEEEENST_IJLi22ELi23ELi24ELi25EEEElEENSB_INS5_IJSR_SP_SP_SR_SG_SG_S2A_S2C_EEENS5_IJSU_SV_SW_SY_SX_SZ_S11_S10_EEENS5_IJS1M_SX_SY_S1N_S11_S12_NST_IJLi9ELi10EEEENST_IJLi11EEEEEEENST_IJLi8ELi9ELi10ELi11EEEElEENS5_IJNSB_INS5_IJSK_SP_SP_NSQ_INS5_IJiS2B_NS27_IiLi64EEEEEELb0EEES2W_EEENS5_IJSU_SV_SW_SX_SY_EEENS5_IJS1M_SX_SY_NST_IJLi5ELi6ELi7EEEENST_IJLi8ELi9ELi10EEEEEEENST_IJLi5ELi6ELi7ELi8ELi9ELi10EEEElEEEEES33_NS_31BlockToCTileMap_M00_N00_M01_N01ILi128ELi128ES1V_Lb0EEENS1_30ComputePtrOffsetOfStridedBatchILi1ELi1ELi1EvEELb0ELb1EEEvPKT0_S3B_T1_PT2_T3_T4_T5_iT6_T7_T8_T9_T10_T11_
; %bb.0:
	s_load_dwordx8 s[4:11], s[0:1], 0x0
	s_load_dword s12, s[0:1], 0x24
	s_load_dwordx4 s[36:39], s[0:1], 0x38
	s_load_dword s33, s[0:1], 0x50
	s_load_dword s48, s[0:1], 0x5c
	s_load_dwordx2 s[34:35], s[0:1], 0xc8
	s_waitcnt lgkmcnt(0)
	s_abs_i32 s13, s12
	v_cvt_f32_u32_e32 v1, s13
	s_load_dword s50, s[0:1], 0x100
	s_load_dword s29, s[0:1], 0x128
	;; [unrolled: 1-line block ×4, first 2 shown]
	s_sub_i32 s15, 0, s13
	s_load_dword s49, s[0:1], 0x160
	s_load_dword s3, s[0:1], 0x188
	v_rcp_iflag_f32_e32 v1, v1
	s_waitcnt lgkmcnt(0)
	s_xor_b32 s12, s14, s12
	s_abs_i32 s14, s14
	s_ashr_i32 s12, s12, 31
	v_mul_f32_e32 v1, 0x4f7ffffe, v1
	v_cvt_u32_f32_e32 v1, v1
	v_lshlrev_b32_e32 v2, 3, v0
	v_and_b32_e32 v76, 8, v2
	v_mul_lo_u32 v23, s50, v76
	v_readfirstlane_b32 s16, v1
	s_mul_i32 s15, s15, s16
	s_mul_hi_u32 s15, s16, s15
	s_add_i32 s16, s16, s15
	s_mul_hi_u32 s15, s14, s16
	s_mul_i32 s16, s15, s13
	s_sub_i32 s14, s14, s16
	s_add_i32 s16, s15, 1
	s_sub_i32 s17, s14, s13
	s_cmp_ge_u32 s14, s13
	s_cselect_b32 s15, s16, s15
	s_cselect_b32 s14, s17, s14
	s_add_i32 s16, s15, 1
	s_cmp_ge_u32 s14, s13
	s_cselect_b32 s13, s16, s15
	s_xor_b32 s13, s13, s12
	s_sub_i32 s28, s13, s12
	s_abs_i32 s30, s28
	v_cvt_f32_u32_e32 v1, s30
	s_load_dword s42, s[0:1], 0x244
	s_load_dword s43, s[0:1], 0x254
	s_load_dwordx8 s[12:19], s[0:1], 0x264
	s_waitcnt lgkmcnt(0)
	s_xor_b32 s13, s2, s28
	s_sub_i32 s28, 0, s30
	v_rcp_iflag_f32_e32 v1, v1
	s_abs_i32 s15, s2
	s_ashr_i32 s13, s13, 31
	s_load_dwordx4 s[44:47], s[0:1], 0x288
	s_load_dwordx8 s[20:27], s[0:1], 0x2a0
	v_mul_f32_e32 v1, 0x4f7ffffe, v1
	v_cvt_u32_f32_e32 v1, v1
	v_mul_hi_u32 v2, v23, s35
	v_add_u32_e32 v2, v23, v2
	v_mul_lo_u32 v22, s49, v76
	v_readfirstlane_b32 s31, v1
	s_mul_i32 s28, s28, s31
	s_mul_hi_u32 s28, s31, s28
	s_add_i32 s31, s31, s28
	s_mul_hi_u32 s28, s15, s31
	s_mul_i32 s31, s28, s30
	s_sub_i32 s15, s15, s31
	s_add_i32 s31, s28, 1
	s_sub_i32 s40, s15, s30
	s_cmp_ge_u32 s15, s30
	s_cselect_b32 s28, s31, s28
	s_cselect_b32 s15, s40, s15
	s_add_i32 s31, s28, 1
	s_cmp_ge_u32 s15, s30
	s_cselect_b32 s15, s31, s28
	s_xor_b32 s15, s15, s13
	s_sub_i32 s13, s15, s13
	s_ashr_i32 s15, s13, 31
	s_waitcnt lgkmcnt(0)
	s_mul_i32 s28, s20, s15
	s_mul_hi_u32 s30, s20, s13
	s_add_i32 s28, s30, s28
	s_mul_i32 s21, s21, s13
	s_add_i32 s21, s28, s21
	s_mul_i32 s28, s22, s15
	s_mul_hi_u32 s30, s22, s13
	s_add_i32 s28, s30, s28
	s_mul_i32 s23, s23, s13
	s_add_i32 s31, s28, s23
	s_mul_i32 s30, s22, s13
	s_mul_i32 s22, s26, s15
	s_mul_hi_u32 s23, s26, s13
	s_add_i32 s22, s23, s22
	s_mul_i32 s23, s27, s13
	s_add_i32 s27, s22, s23
	s_mul_i32 s15, s24, s15
	s_mul_hi_u32 s22, s24, s13
	s_add_i32 s15, s22, s15
	s_mul_i32 s22, s25, s13
	s_add_i32 s23, s15, s22
	s_mul_i32 s22, s24, s13
	s_lshl_b64 s[22:23], s[22:23], 1
	s_mul_i32 s20, s20, s13
	s_add_u32 s24, s8, s22
	s_addc_u32 s22, s9, s23
	s_lshl_b64 s[8:9], s[20:21], 1
	s_add_u32 s28, s4, s8
	s_addc_u32 s23, s5, s9
	s_lshl_b64 s[4:5], s[30:31], 1
	s_mul_i32 s26, s26, s13
	s_add_u32 s40, s6, s4
	s_addc_u32 s25, s7, s5
	s_lshl_b64 s[4:5], s[26:27], 1
	s_add_u32 s20, s10, s4
	s_mul_hi_u32 s4, s19, s2
	s_addc_u32 s21, s11, s5
	s_add_i32 s8, s2, s4
	s_load_dwordx4 s[4:7], s[0:1], 0x260
	s_waitcnt lgkmcnt(0)
	s_lshr_b32 s5, s8, s47
	s_mul_hi_u32 s7, s5, s18
	s_add_i32 s7, s5, s7
	s_lshr_b32 s7, s7, s46
	s_mul_hi_u32 s8, s7, s17
	s_add_i32 s8, s7, s8
	s_lshr_b32 s8, s8, s45
	s_mul_i32 s10, s5, s14
	s_sub_i32 s2, s2, s10
	s_mul_hi_u32 s10, s8, s16
	s_add_i32 s10, s8, s10
	s_lshr_b32 s10, s10, s44
	s_mul_i32 s9, s8, s12
	s_mul_i32 s10, s10, s4
	s_sub_i32 s9, s7, s9
	s_mul_i32 s7, s7, s6
	s_sub_i32 s4, s8, s10
	s_sub_i32 s5, s5, s7
	s_mul_i32 s9, s9, s43
	s_mul_i32 s4, s4, s42
	s_add_i32 s2, s2, s9
	s_add_i32 s16, s5, s4
	s_load_dwordx2 s[8:9], s[0:1], 0xac
	s_load_dwordx2 s[10:11], s[0:1], 0xbc
	;; [unrolled: 1-line block ×3, first 2 shown]
	s_load_dwordx4 s[4:7], s[0:1], 0x94
	s_lshl_b32 s18, s16, 7
	s_load_dwordx2 s[16:17], s[0:1], 0x74
	s_waitcnt lgkmcnt(0)
	s_load_dword s6, s[0:1], 0xa4
	s_load_dwordx2 s[12:13], s[0:1], 0x84
	v_lshrrev_b32_e32 v1, 1, v0
	v_or_b32_e32 v24, s18, v1
	v_lshrrev_b32_e32 v2, s15, v2
	s_waitcnt lgkmcnt(0)
	v_mul_hi_u32 v3, v24, s6
	v_mul_hi_u32 v4, v2, s34
	v_add_u32_e32 v3, v24, v3
	v_add_u32_e32 v4, v2, v4
	v_lshrrev_b32_e32 v3, s9, v3
	v_lshrrev_b32_e32 v6, s14, v4
	v_mul_hi_u32 v4, v3, s7
	v_add_u32_e32 v4, v3, v4
	v_lshrrev_b32_e32 v4, s8, v4
	v_mul_lo_u32 v5, v4, s4
	v_mul_lo_u32 v8, v6, s10
	v_sub_u32_e32 v5, v3, v5
	v_mul_lo_u32 v3, v3, s5
	v_sub_u32_e32 v8, v2, v8
	;; [unrolled: 2-line block ×3, first 2 shown]
	v_mul_lo_u32 v2, v8, s12
	v_mad_u64_u32 v[18:19], s[4:5], v3, s13, v[2:3]
	v_mul_lo_u32 v2, v6, s16
	v_subrev_u32_e32 v3, s48, v18
	v_mad_u64_u32 v[20:21], s[4:5], v5, s17, v[2:3]
	s_lshl_b32 s17, s50, 2
	v_add_u32_e32 v21, s17, v23
	v_mul_hi_u32 v10, v21, s35
	v_add_u32_e32 v10, v21, v10
	v_lshrrev_b32_e32 v10, s15, v10
	v_sub_u32_e32 v7, v23, v7
	v_subrev_u32_e32 v2, s33, v20
	v_mul_lo_u32 v11, v10, s11
	v_mul_lo_u32 v5, v2, s37
	;; [unrolled: 1-line block ×3, first 2 shown]
	v_sub_u32_e32 v80, v21, v11
	v_mul_hi_u32 v11, s34, v10
	v_mul_lo_u32 v4, v4, s36
	v_mad_u64_u32 v[2:3], s[4:5], v3, s38, v[2:3]
	v_add_u32_e32 v11, v10, v11
	v_add3_u32 v9, v2, v4, v5
	v_lshrrev_b32_e32 v79, s14, v11
	s_lshl_b32 s30, s29, 1
	s_and_b32 s29, s23, 0xffff
	s_mov_b32 s31, 0x20000
	v_lshlrev_b32_e32 v2, 1, v9
	v_mul_lo_u32 v11, v79, s10
	buffer_load_dwordx4 v[2:5], v2, s[28:31], 0 offen
	v_sub_u32_e32 v81, v10, v11
	v_sub_u32_e32 v7, v80, v7
	;; [unrolled: 1-line block ×4, first 2 shown]
	v_mul_lo_u32 v25, v8, s12
	v_mul_lo_u32 v26, v6, s16
	;; [unrolled: 1-line block ×4, first 2 shown]
	v_mad_u64_u32 v[6:7], s[4:5], v26, s37, v[6:7]
	s_lshl_b32 s13, s2, 7
	v_add3_u32 v82, v6, v8, v9
	v_or_b32_e32 v19, s13, v1
	v_lshlrev_b32_e32 v6, 1, v82
	buffer_load_dwordx4 v[6:9], v6, s[28:31], 0 offen
	v_mad_u64_u32 v[14:15], s[4:5], v19, s41, v[22:23]
	s_lshl_b32 s42, s3, 1
	s_and_b32 s41, s25, 0xffff
	s_mov_b32 s43, s31
	v_lshlrev_b32_e32 v10, 1, v14
	s_lshl_b32 s19, s49, 2
	buffer_load_dwordx4 v[10:13], v10, s[40:43], 0 offen
	v_add_u32_e32 v78, s19, v14
	v_lshlrev_b32_e32 v14, 1, v78
	buffer_load_dwordx4 v[14:17], v14, s[40:43], 0 offen
	s_load_dwordx4 s[44:47], s[0:1], 0x4c
	s_load_dwordx4 s[52:55], s[0:1], 0x58
	s_load_dword s8, s[0:1], 0x144
	s_load_dword s23, s[0:1], 0x150
	;; [unrolled: 1-line block ×4, first 2 shown]
	s_waitcnt lgkmcnt(0)
	s_sub_i32 s26, s52, s54
	v_cmp_gt_i32_e64 s[6:7], s26, v18
	s_sub_i32 s27, s44, s46
	v_cmp_gt_i32_e32 vcc, s4, v24
	v_cmp_gt_i32_e64 s[2:3], s25, v23
	v_cmp_le_i32_e64 s[4:5], s48, v18
	s_and_b64 s[2:3], s[6:7], s[2:3]
	v_lshrrev_b32_e32 v27, 5, v0
	v_lshlrev_b32_e32 v29, 1, v0
	s_and_b64 s[6:7], s[2:3], s[4:5]
	v_cmp_le_i32_e64 s[2:3], s33, v20
	v_cmp_gt_i32_e64 s[4:5], s27, v20
	v_lshlrev_b32_e32 v28, 6, v27
	v_and_b32_e32 v30, 0x1f8, v29
	s_and_b64 s[2:3], s[2:3], s[4:5]
	v_sub_u32_e32 v28, v30, v28
	v_lshlrev_b32_e32 v0, 2, v0
	s_and_b64 s[2:3], s[6:7], s[2:3]
	v_and_or_b32 v72, v0, 4, v28
	v_lshlrev_b32_e32 v0, 3, v27
	s_and_b64 s[2:3], vcc, s[2:3]
	v_add_u32_e32 v84, v18, v25
	v_and_or_b32 v73, v29, 4, v0
	v_cmp_gt_i32_e64 s[6:7], s26, v84
	v_add_u32_e32 v85, v20, v26
	v_cmp_le_i32_e64 s[4:5], s48, v84
	v_add_u32_e32 v83, s19, v22
	v_lshlrev_b32_e32 v1, 2, v1
	v_lshl_or_b32 v77, v76, 9, v1
	v_lshlrev_b32_e32 v74, 2, v73
	v_lshlrev_b32_e32 v75, 2, v72
	v_mov_b32_e32 v70, 0
	v_mov_b32_e32 v71, 0
	;; [unrolled: 1-line block ×21, first 2 shown]
	s_waitcnt vmcnt(3)
	v_cndmask_b32_e64 v0, 0, v5, s[2:3]
	v_cndmask_b32_e64 v4, 0, v4, s[2:3]
	;; [unrolled: 1-line block ×4, first 2 shown]
	v_cmp_gt_i32_e64 s[2:3], s25, v21
	s_and_b64 s[2:3], s[6:7], s[2:3]
	s_and_b64 s[6:7], s[2:3], s[4:5]
	v_cmp_le_i32_e64 s[2:3], s33, v85
	v_cmp_gt_i32_e64 s[4:5], s27, v85
	s_and_b64 s[2:3], s[2:3], s[4:5]
	s_and_b64 s[2:3], s[6:7], s[2:3]
	s_and_b64 s[2:3], vcc, s[2:3]
	v_cmp_gt_i32_e64 s[4:5], s23, v22
	v_mov_b32_e32 v63, 0
	v_mov_b32_e32 v60, 0
	s_waitcnt vmcnt(2)
	v_cndmask_b32_e64 v5, 0, v9, s[2:3]
	v_cndmask_b32_e64 v8, 0, v8, s[2:3]
	;; [unrolled: 1-line block ×4, first 2 shown]
	v_cmp_gt_i32_e64 s[2:3], s8, v19
	s_and_b64 s[4:5], s[4:5], s[2:3]
	v_mov_b32_e32 v61, 0
	v_mov_b32_e32 v52, 0
	s_waitcnt vmcnt(1)
	v_cndmask_b32_e64 v9, 0, v13, s[4:5]
	v_cndmask_b32_e64 v12, 0, v12, s[4:5]
	;; [unrolled: 1-line block ×4, first 2 shown]
	v_cmp_gt_i32_e64 s[4:5], s23, v83
	s_and_b64 s[4:5], s[4:5], s[2:3]
	v_mov_b32_e32 v53, 0
	s_waitcnt vmcnt(0)
	v_cndmask_b32_e64 v13, 0, v17, s[4:5]
	v_cndmask_b32_e64 v16, 0, v16, s[4:5]
	;; [unrolled: 1-line block ×4, first 2 shown]
	ds_write2st64_b32 v77, v2, v3 offset1:2
	ds_write2st64_b32 v77, v4, v0 offset0:4 offset1:6
	ds_write2st64_b32 v77, v6, v7 offset0:8 offset1:10
	;; [unrolled: 1-line block ×7, first 2 shown]
	s_waitcnt lgkmcnt(0)
	s_barrier
	ds_read_b128 v[0:3], v74
	ds_read_b128 v[4:7], v75 offset:16384
	ds_read_b128 v[86:89], v75 offset:16640
	;; [unrolled: 1-line block ×3, first 2 shown]
	v_mov_b32_e32 v48, 0
	v_mov_b32_e32 v49, 0
	;; [unrolled: 1-line block ×38, first 2 shown]
	s_waitcnt lgkmcnt(2)
	v_dot2c_f32_f16_e32 v70, v0, v4
	v_dot2c_f32_f16_e32 v71, v0, v5
	v_dot2c_f32_f16_e32 v68, v0, v6
	v_dot2c_f32_f16_e32 v69, v0, v7
	v_dot2c_f32_f16_e32 v58, v1, v4
	v_dot2c_f32_f16_e32 v59, v1, v5
	v_dot2c_f32_f16_e32 v56, v1, v6
	v_dot2c_f32_f16_e32 v57, v1, v7
	v_dot2c_f32_f16_e32 v54, v2, v4
	v_dot2c_f32_f16_e32 v55, v2, v5
	v_dot2c_f32_f16_e32 v50, v2, v6
	v_dot2c_f32_f16_e32 v51, v2, v7
	v_dot2c_f32_f16_e32 v34, v3, v4
	v_dot2c_f32_f16_e32 v35, v3, v5
	v_dot2c_f32_f16_e32 v32, v3, v6
	v_dot2c_f32_f16_e32 v33, v3, v7
	s_waitcnt lgkmcnt(1)
	v_dot2c_f32_f16_e32 v66, v0, v86
	v_dot2c_f32_f16_e32 v67, v0, v87
	v_dot2c_f32_f16_e32 v64, v0, v88
	v_dot2c_f32_f16_e32 v65, v0, v89
	v_dot2c_f32_f16_e32 v62, v1, v86
	v_dot2c_f32_f16_e32 v63, v1, v87
	v_dot2c_f32_f16_e32 v60, v1, v88
	v_dot2c_f32_f16_e32 v61, v1, v89
	v_dot2c_f32_f16_e32 v52, v2, v86
	v_dot2c_f32_f16_e32 v53, v2, v87
	v_dot2c_f32_f16_e32 v48, v2, v88
	v_dot2c_f32_f16_e32 v49, v2, v89
	v_dot2c_f32_f16_e32 v46, v3, v86
	v_dot2c_f32_f16_e32 v47, v3, v87
	v_dot2c_f32_f16_e32 v44, v3, v88
	v_dot2c_f32_f16_e32 v45, v3, v89
	;; [unrolled: 17-line block ×3, first 2 shown]
	v_dot2c_f32_f16_e32 v14, v90, v86
	v_dot2c_f32_f16_e32 v15, v90, v87
	;; [unrolled: 1-line block ×16, first 2 shown]
	ds_read_b128 v[0:3], v74 offset:512
	ds_read_b128 v[4:7], v75 offset:16896
	;; [unrolled: 1-line block ×3, first 2 shown]
	v_or_b32_e32 v76, 16, v76
	s_mul_i32 s49, s49, 12
	v_add_u32_e32 v83, s49, v83
	s_waitcnt lgkmcnt(1)
	v_dot2c_f32_f16_e32 v70, v0, v4
	v_dot2c_f32_f16_e32 v71, v0, v5
	;; [unrolled: 1-line block ×16, first 2 shown]
	s_waitcnt lgkmcnt(0)
	v_dot2c_f32_f16_e32 v66, v0, v86
	v_dot2c_f32_f16_e32 v67, v0, v87
	;; [unrolled: 1-line block ×16, first 2 shown]
	ds_read_b128 v[0:3], v74 offset:768
	s_and_b32 s21, s21, 0xffff
	s_waitcnt lgkmcnt(0)
	v_dot2c_f32_f16_e32 v10, v0, v4
	v_dot2c_f32_f16_e32 v11, v0, v5
	;; [unrolled: 1-line block ×32, first 2 shown]
	ds_read_b128 v[0:3], v74 offset:1024
	ds_read_b128 v[4:7], v75 offset:17408
	;; [unrolled: 1-line block ×3, first 2 shown]
	s_waitcnt lgkmcnt(1)
	v_dot2c_f32_f16_e32 v70, v0, v4
	v_dot2c_f32_f16_e32 v71, v0, v5
	;; [unrolled: 1-line block ×16, first 2 shown]
	s_waitcnt lgkmcnt(0)
	v_dot2c_f32_f16_e32 v66, v0, v86
	v_dot2c_f32_f16_e32 v67, v0, v87
	;; [unrolled: 1-line block ×16, first 2 shown]
	ds_read_b128 v[0:3], v74 offset:1280
	s_waitcnt lgkmcnt(0)
	v_dot2c_f32_f16_e32 v10, v0, v4
	v_dot2c_f32_f16_e32 v11, v0, v5
	;; [unrolled: 1-line block ×32, first 2 shown]
	ds_read_b128 v[0:3], v74 offset:1536
	ds_read_b128 v[4:7], v75 offset:17920
	;; [unrolled: 1-line block ×3, first 2 shown]
	s_waitcnt lgkmcnt(1)
	v_dot2c_f32_f16_e32 v70, v0, v4
	v_dot2c_f32_f16_e32 v71, v0, v5
	v_dot2c_f32_f16_e32 v68, v0, v6
	v_dot2c_f32_f16_e32 v69, v0, v7
	v_dot2c_f32_f16_e32 v58, v1, v4
	v_dot2c_f32_f16_e32 v59, v1, v5
	v_dot2c_f32_f16_e32 v56, v1, v6
	v_dot2c_f32_f16_e32 v57, v1, v7
	v_dot2c_f32_f16_e32 v54, v2, v4
	v_dot2c_f32_f16_e32 v55, v2, v5
	v_dot2c_f32_f16_e32 v50, v2, v6
	v_dot2c_f32_f16_e32 v51, v2, v7
	v_dot2c_f32_f16_e32 v34, v3, v4
	v_dot2c_f32_f16_e32 v35, v3, v5
	v_dot2c_f32_f16_e32 v32, v3, v6
	v_dot2c_f32_f16_e32 v33, v3, v7
	s_waitcnt lgkmcnt(0)
	v_dot2c_f32_f16_e32 v66, v0, v86
	v_dot2c_f32_f16_e32 v67, v0, v87
	;; [unrolled: 1-line block ×16, first 2 shown]
	ds_read_b128 v[0:3], v74 offset:1792
	s_waitcnt lgkmcnt(0)
	v_dot2c_f32_f16_e32 v10, v0, v4
	v_dot2c_f32_f16_e32 v11, v0, v5
	;; [unrolled: 1-line block ×32, first 2 shown]
	ds_read_b128 v[0:3], v74 offset:2048
	ds_read_b128 v[4:7], v75 offset:18432
	;; [unrolled: 1-line block ×3, first 2 shown]
	s_waitcnt lgkmcnt(1)
	v_dot2c_f32_f16_e32 v70, v0, v4
	v_dot2c_f32_f16_e32 v71, v0, v5
	;; [unrolled: 1-line block ×16, first 2 shown]
	s_waitcnt lgkmcnt(0)
	v_dot2c_f32_f16_e32 v66, v0, v86
	v_dot2c_f32_f16_e32 v67, v0, v87
	;; [unrolled: 1-line block ×16, first 2 shown]
	ds_read_b128 v[0:3], v74 offset:2304
	s_waitcnt lgkmcnt(0)
	v_dot2c_f32_f16_e32 v10, v0, v4
	v_dot2c_f32_f16_e32 v11, v0, v5
	;; [unrolled: 1-line block ×32, first 2 shown]
	ds_read_b128 v[0:3], v74 offset:2560
	ds_read_b128 v[4:7], v75 offset:18944
	ds_read_b128 v[86:89], v75 offset:19200
	s_waitcnt lgkmcnt(1)
	v_dot2c_f32_f16_e32 v70, v0, v4
	v_dot2c_f32_f16_e32 v71, v0, v5
	;; [unrolled: 1-line block ×16, first 2 shown]
	s_waitcnt lgkmcnt(0)
	v_dot2c_f32_f16_e32 v66, v0, v86
	v_dot2c_f32_f16_e32 v67, v0, v87
	v_dot2c_f32_f16_e32 v64, v0, v88
	v_dot2c_f32_f16_e32 v65, v0, v89
	v_dot2c_f32_f16_e32 v62, v1, v86
	v_dot2c_f32_f16_e32 v63, v1, v87
	v_dot2c_f32_f16_e32 v60, v1, v88
	v_dot2c_f32_f16_e32 v61, v1, v89
	v_dot2c_f32_f16_e32 v52, v2, v86
	v_dot2c_f32_f16_e32 v53, v2, v87
	v_dot2c_f32_f16_e32 v48, v2, v88
	v_dot2c_f32_f16_e32 v49, v2, v89
	v_dot2c_f32_f16_e32 v46, v3, v86
	v_dot2c_f32_f16_e32 v47, v3, v87
	v_dot2c_f32_f16_e32 v44, v3, v88
	v_dot2c_f32_f16_e32 v45, v3, v89
	ds_read_b128 v[0:3], v74 offset:2816
	s_waitcnt lgkmcnt(0)
	v_dot2c_f32_f16_e32 v10, v0, v4
	v_dot2c_f32_f16_e32 v11, v0, v5
	;; [unrolled: 1-line block ×32, first 2 shown]
	ds_read_b128 v[0:3], v74 offset:3072
	ds_read_b128 v[4:7], v75 offset:19456
	;; [unrolled: 1-line block ×3, first 2 shown]
	s_waitcnt lgkmcnt(1)
	v_dot2c_f32_f16_e32 v70, v0, v4
	v_dot2c_f32_f16_e32 v71, v0, v5
	;; [unrolled: 1-line block ×16, first 2 shown]
	s_waitcnt lgkmcnt(0)
	v_dot2c_f32_f16_e32 v66, v0, v86
	v_dot2c_f32_f16_e32 v67, v0, v87
	;; [unrolled: 1-line block ×16, first 2 shown]
	ds_read_b128 v[0:3], v74 offset:3328
	s_waitcnt lgkmcnt(0)
	v_dot2c_f32_f16_e32 v10, v0, v4
	v_dot2c_f32_f16_e32 v11, v0, v5
	;; [unrolled: 1-line block ×32, first 2 shown]
	ds_read_b128 v[0:3], v74 offset:3584
	ds_read_b128 v[4:7], v75 offset:19968
	;; [unrolled: 1-line block ×3, first 2 shown]
	s_waitcnt lgkmcnt(1)
	v_dot2c_f32_f16_e32 v70, v0, v4
	v_dot2c_f32_f16_e32 v71, v0, v5
	;; [unrolled: 1-line block ×16, first 2 shown]
	s_waitcnt lgkmcnt(0)
	v_dot2c_f32_f16_e32 v66, v0, v86
	v_dot2c_f32_f16_e32 v67, v0, v87
	;; [unrolled: 1-line block ×16, first 2 shown]
	ds_read_b128 v[0:3], v74 offset:3840
	s_waitcnt lgkmcnt(0)
	v_dot2c_f32_f16_e32 v10, v0, v4
	v_dot2c_f32_f16_e32 v11, v0, v5
	v_dot2c_f32_f16_e32 v8, v0, v6
	v_dot2c_f32_f16_e32 v9, v0, v7
	v_dot2c_f32_f16_e32 v22, v1, v4
	v_dot2c_f32_f16_e32 v23, v1, v5
	v_dot2c_f32_f16_e32 v18, v1, v6
	v_dot2c_f32_f16_e32 v19, v1, v7
	v_dot2c_f32_f16_e32 v26, v2, v4
	v_dot2c_f32_f16_e32 v27, v2, v5
	v_dot2c_f32_f16_e32 v24, v2, v6
	v_dot2c_f32_f16_e32 v25, v2, v7
	v_dot2c_f32_f16_e32 v42, v3, v4
	v_dot2c_f32_f16_e32 v43, v3, v5
	v_dot2c_f32_f16_e32 v38, v3, v6
	v_dot2c_f32_f16_e32 v39, v3, v7
	v_dot2c_f32_f16_e32 v14, v0, v86
	v_dot2c_f32_f16_e32 v15, v0, v87
	v_dot2c_f32_f16_e32 v12, v0, v88
	v_dot2c_f32_f16_e32 v13, v0, v89
	v_dot2c_f32_f16_e32 v20, v1, v86
	v_dot2c_f32_f16_e32 v21, v1, v87
	v_dot2c_f32_f16_e32 v16, v1, v88
	v_dot2c_f32_f16_e32 v17, v1, v89
	v_dot2c_f32_f16_e32 v30, v2, v86
	v_dot2c_f32_f16_e32 v31, v2, v87
	v_dot2c_f32_f16_e32 v28, v2, v88
	v_dot2c_f32_f16_e32 v29, v2, v89
	v_dot2c_f32_f16_e32 v40, v3, v86
	v_dot2c_f32_f16_e32 v41, v3, v87
	v_dot2c_f32_f16_e32 v36, v3, v88
	v_dot2c_f32_f16_e32 v37, v3, v89
	ds_read_b128 v[0:3], v74 offset:4096
	ds_read_b128 v[4:7], v75 offset:20480
	;; [unrolled: 1-line block ×3, first 2 shown]
	s_waitcnt lgkmcnt(1)
	v_dot2c_f32_f16_e32 v70, v0, v4
	v_dot2c_f32_f16_e32 v71, v0, v5
	;; [unrolled: 1-line block ×16, first 2 shown]
	s_waitcnt lgkmcnt(0)
	v_dot2c_f32_f16_e32 v66, v0, v86
	v_dot2c_f32_f16_e32 v67, v0, v87
	;; [unrolled: 1-line block ×16, first 2 shown]
	ds_read_b128 v[0:3], v74 offset:4352
	s_waitcnt lgkmcnt(0)
	v_dot2c_f32_f16_e32 v10, v0, v4
	v_dot2c_f32_f16_e32 v11, v0, v5
	;; [unrolled: 1-line block ×32, first 2 shown]
	ds_read_b128 v[0:3], v74 offset:4608
	ds_read_b128 v[4:7], v75 offset:20992
	;; [unrolled: 1-line block ×3, first 2 shown]
	s_waitcnt lgkmcnt(1)
	v_dot2c_f32_f16_e32 v70, v0, v4
	v_dot2c_f32_f16_e32 v71, v0, v5
	;; [unrolled: 1-line block ×16, first 2 shown]
	s_waitcnt lgkmcnt(0)
	v_dot2c_f32_f16_e32 v66, v0, v86
	v_dot2c_f32_f16_e32 v67, v0, v87
	;; [unrolled: 1-line block ×16, first 2 shown]
	ds_read_b128 v[0:3], v74 offset:4864
	s_waitcnt lgkmcnt(0)
	v_dot2c_f32_f16_e32 v10, v0, v4
	v_dot2c_f32_f16_e32 v11, v0, v5
	v_dot2c_f32_f16_e32 v8, v0, v6
	v_dot2c_f32_f16_e32 v9, v0, v7
	v_dot2c_f32_f16_e32 v22, v1, v4
	v_dot2c_f32_f16_e32 v23, v1, v5
	v_dot2c_f32_f16_e32 v18, v1, v6
	v_dot2c_f32_f16_e32 v19, v1, v7
	v_dot2c_f32_f16_e32 v26, v2, v4
	v_dot2c_f32_f16_e32 v27, v2, v5
	v_dot2c_f32_f16_e32 v24, v2, v6
	v_dot2c_f32_f16_e32 v25, v2, v7
	v_dot2c_f32_f16_e32 v42, v3, v4
	v_dot2c_f32_f16_e32 v43, v3, v5
	v_dot2c_f32_f16_e32 v38, v3, v6
	v_dot2c_f32_f16_e32 v39, v3, v7
	v_dot2c_f32_f16_e32 v14, v0, v86
	v_dot2c_f32_f16_e32 v15, v0, v87
	v_dot2c_f32_f16_e32 v12, v0, v88
	v_dot2c_f32_f16_e32 v13, v0, v89
	v_dot2c_f32_f16_e32 v20, v1, v86
	v_dot2c_f32_f16_e32 v21, v1, v87
	v_dot2c_f32_f16_e32 v16, v1, v88
	v_dot2c_f32_f16_e32 v17, v1, v89
	v_dot2c_f32_f16_e32 v30, v2, v86
	v_dot2c_f32_f16_e32 v31, v2, v87
	v_dot2c_f32_f16_e32 v28, v2, v88
	v_dot2c_f32_f16_e32 v29, v2, v89
	v_dot2c_f32_f16_e32 v40, v3, v86
	v_dot2c_f32_f16_e32 v41, v3, v87
	v_dot2c_f32_f16_e32 v36, v3, v88
	v_dot2c_f32_f16_e32 v37, v3, v89
	ds_read_b128 v[0:3], v74 offset:5120
	ds_read_b128 v[4:7], v75 offset:21504
	;; [unrolled: 1-line block ×3, first 2 shown]
	s_waitcnt lgkmcnt(1)
	v_dot2c_f32_f16_e32 v70, v0, v4
	v_dot2c_f32_f16_e32 v71, v0, v5
	;; [unrolled: 1-line block ×16, first 2 shown]
	s_waitcnt lgkmcnt(0)
	v_dot2c_f32_f16_e32 v66, v0, v86
	v_dot2c_f32_f16_e32 v67, v0, v87
	;; [unrolled: 1-line block ×16, first 2 shown]
	ds_read_b128 v[0:3], v74 offset:5376
	s_waitcnt lgkmcnt(0)
	v_dot2c_f32_f16_e32 v10, v0, v4
	v_dot2c_f32_f16_e32 v11, v0, v5
	;; [unrolled: 1-line block ×32, first 2 shown]
	ds_read_b128 v[0:3], v74 offset:5632
	ds_read_b128 v[4:7], v75 offset:22016
	;; [unrolled: 1-line block ×3, first 2 shown]
	s_waitcnt lgkmcnt(1)
	v_dot2c_f32_f16_e32 v70, v0, v4
	v_dot2c_f32_f16_e32 v71, v0, v5
	;; [unrolled: 1-line block ×16, first 2 shown]
	s_waitcnt lgkmcnt(0)
	v_dot2c_f32_f16_e32 v66, v0, v86
	v_dot2c_f32_f16_e32 v67, v0, v87
	v_dot2c_f32_f16_e32 v64, v0, v88
	v_dot2c_f32_f16_e32 v65, v0, v89
	v_dot2c_f32_f16_e32 v62, v1, v86
	v_dot2c_f32_f16_e32 v63, v1, v87
	v_dot2c_f32_f16_e32 v60, v1, v88
	v_dot2c_f32_f16_e32 v61, v1, v89
	v_dot2c_f32_f16_e32 v52, v2, v86
	v_dot2c_f32_f16_e32 v53, v2, v87
	v_dot2c_f32_f16_e32 v48, v2, v88
	v_dot2c_f32_f16_e32 v49, v2, v89
	v_dot2c_f32_f16_e32 v46, v3, v86
	v_dot2c_f32_f16_e32 v47, v3, v87
	v_dot2c_f32_f16_e32 v44, v3, v88
	v_dot2c_f32_f16_e32 v45, v3, v89
	ds_read_b128 v[0:3], v74 offset:5888
	s_waitcnt lgkmcnt(0)
	v_dot2c_f32_f16_e32 v10, v0, v4
	v_dot2c_f32_f16_e32 v11, v0, v5
	;; [unrolled: 1-line block ×32, first 2 shown]
	ds_read_b128 v[0:3], v74 offset:6144
	ds_read_b128 v[4:7], v75 offset:22528
	;; [unrolled: 1-line block ×3, first 2 shown]
	s_waitcnt lgkmcnt(1)
	v_dot2c_f32_f16_e32 v70, v0, v4
	v_dot2c_f32_f16_e32 v71, v0, v5
	;; [unrolled: 1-line block ×16, first 2 shown]
	s_waitcnt lgkmcnt(0)
	v_dot2c_f32_f16_e32 v66, v0, v86
	v_dot2c_f32_f16_e32 v67, v0, v87
	v_dot2c_f32_f16_e32 v64, v0, v88
	v_dot2c_f32_f16_e32 v65, v0, v89
	v_dot2c_f32_f16_e32 v62, v1, v86
	v_dot2c_f32_f16_e32 v63, v1, v87
	v_dot2c_f32_f16_e32 v60, v1, v88
	v_dot2c_f32_f16_e32 v61, v1, v89
	v_dot2c_f32_f16_e32 v52, v2, v86
	v_dot2c_f32_f16_e32 v53, v2, v87
	v_dot2c_f32_f16_e32 v48, v2, v88
	v_dot2c_f32_f16_e32 v49, v2, v89
	v_dot2c_f32_f16_e32 v46, v3, v86
	v_dot2c_f32_f16_e32 v47, v3, v87
	v_dot2c_f32_f16_e32 v44, v3, v88
	v_dot2c_f32_f16_e32 v45, v3, v89
	ds_read_b128 v[0:3], v74 offset:6400
	s_waitcnt lgkmcnt(0)
	v_dot2c_f32_f16_e32 v10, v0, v4
	v_dot2c_f32_f16_e32 v11, v0, v5
	;; [unrolled: 1-line block ×32, first 2 shown]
	ds_read_b128 v[0:3], v74 offset:6656
	ds_read_b128 v[4:7], v75 offset:23040
	;; [unrolled: 1-line block ×3, first 2 shown]
	s_waitcnt lgkmcnt(1)
	v_dot2c_f32_f16_e32 v70, v0, v4
	v_dot2c_f32_f16_e32 v71, v0, v5
	;; [unrolled: 1-line block ×16, first 2 shown]
	s_waitcnt lgkmcnt(0)
	v_dot2c_f32_f16_e32 v66, v0, v86
	v_dot2c_f32_f16_e32 v67, v0, v87
	;; [unrolled: 1-line block ×16, first 2 shown]
	ds_read_b128 v[0:3], v74 offset:6912
	s_waitcnt lgkmcnt(0)
	v_dot2c_f32_f16_e32 v10, v0, v4
	v_dot2c_f32_f16_e32 v11, v0, v5
	;; [unrolled: 1-line block ×32, first 2 shown]
	ds_read_b128 v[0:3], v74 offset:7168
	ds_read_b128 v[4:7], v75 offset:23552
	;; [unrolled: 1-line block ×3, first 2 shown]
	s_waitcnt lgkmcnt(1)
	v_dot2c_f32_f16_e32 v70, v0, v4
	v_dot2c_f32_f16_e32 v71, v0, v5
	;; [unrolled: 1-line block ×16, first 2 shown]
	s_waitcnt lgkmcnt(0)
	v_dot2c_f32_f16_e32 v66, v0, v86
	v_dot2c_f32_f16_e32 v67, v0, v87
	;; [unrolled: 1-line block ×16, first 2 shown]
	ds_read_b128 v[0:3], v74 offset:7424
	s_waitcnt lgkmcnt(0)
	v_dot2c_f32_f16_e32 v10, v0, v4
	v_dot2c_f32_f16_e32 v11, v0, v5
	v_dot2c_f32_f16_e32 v8, v0, v6
	v_dot2c_f32_f16_e32 v9, v0, v7
	v_dot2c_f32_f16_e32 v22, v1, v4
	v_dot2c_f32_f16_e32 v23, v1, v5
	v_dot2c_f32_f16_e32 v18, v1, v6
	v_dot2c_f32_f16_e32 v19, v1, v7
	v_dot2c_f32_f16_e32 v26, v2, v4
	v_dot2c_f32_f16_e32 v27, v2, v5
	v_dot2c_f32_f16_e32 v24, v2, v6
	v_dot2c_f32_f16_e32 v25, v2, v7
	v_dot2c_f32_f16_e32 v42, v3, v4
	v_dot2c_f32_f16_e32 v43, v3, v5
	v_dot2c_f32_f16_e32 v38, v3, v6
	v_dot2c_f32_f16_e32 v39, v3, v7
	v_dot2c_f32_f16_e32 v14, v0, v86
	v_dot2c_f32_f16_e32 v15, v0, v87
	v_dot2c_f32_f16_e32 v12, v0, v88
	v_dot2c_f32_f16_e32 v13, v0, v89
	v_dot2c_f32_f16_e32 v20, v1, v86
	v_dot2c_f32_f16_e32 v21, v1, v87
	v_dot2c_f32_f16_e32 v16, v1, v88
	v_dot2c_f32_f16_e32 v17, v1, v89
	v_dot2c_f32_f16_e32 v30, v2, v86
	v_dot2c_f32_f16_e32 v31, v2, v87
	v_dot2c_f32_f16_e32 v28, v2, v88
	v_dot2c_f32_f16_e32 v29, v2, v89
	v_dot2c_f32_f16_e32 v40, v3, v86
	v_dot2c_f32_f16_e32 v41, v3, v87
	v_dot2c_f32_f16_e32 v36, v3, v88
	v_dot2c_f32_f16_e32 v37, v3, v89
	ds_read_b128 v[4:7], v74 offset:7680
	ds_read_b128 v[86:89], v75 offset:24064
	;; [unrolled: 1-line block ×3, first 2 shown]
	s_waitcnt lgkmcnt(1)
	v_dot2c_f32_f16_e32 v70, v4, v86
	v_dot2c_f32_f16_e32 v71, v4, v87
	;; [unrolled: 1-line block ×16, first 2 shown]
	s_waitcnt lgkmcnt(0)
	v_dot2c_f32_f16_e32 v66, v4, v0
	v_dot2c_f32_f16_e32 v67, v4, v1
	;; [unrolled: 1-line block ×16, first 2 shown]
	ds_read_b128 v[4:7], v74 offset:7936
	s_waitcnt lgkmcnt(0)
	v_dot2c_f32_f16_e32 v8, v4, v88
	v_dot2c_f32_f16_e32 v18, v5, v88
	;; [unrolled: 1-line block ×4, first 2 shown]
	v_mul_lo_u32 v88, s50, v76
	v_mul_hi_u32 v76, v88, s35
	v_add_u32_e32 v76, v88, v76
	v_dot2c_f32_f16_e32 v10, v4, v86
	v_dot2c_f32_f16_e32 v22, v5, v86
	v_dot2c_f32_f16_e32 v26, v6, v86
	v_dot2c_f32_f16_e32 v42, v7, v86
	v_lshrrev_b32_e32 v86, s15, v76
	v_mul_lo_u32 v76, v86, s11
	v_sub_u32_e32 v76, v88, v76
	v_dot2c_f32_f16_e32 v11, v4, v87
	v_dot2c_f32_f16_e32 v23, v5, v87
	;; [unrolled: 1-line block ×4, first 2 shown]
	v_sub_u32_e32 v87, v76, v80
	v_mul_hi_u32 v80, s34, v86
	v_add_u32_e32 v80, v86, v80
	v_dot2c_f32_f16_e32 v9, v4, v89
	v_dot2c_f32_f16_e32 v19, v5, v89
	;; [unrolled: 1-line block ×4, first 2 shown]
	v_lshrrev_b32_e32 v89, s14, v80
	v_mul_lo_u32 v80, v89, s10
	v_sub_u32_e32 v80, v86, v80
	v_sub_u32_e32 v79, v89, v79
	;; [unrolled: 1-line block ×3, first 2 shown]
	v_mul_lo_u32 v79, v79, s16
	v_mul_lo_u32 v86, v87, s39
	v_mul_lo_u32 v81, v81, s12
	v_mad_u64_u32 v[86:87], s[4:5], v79, s37, v[86:87]
	v_mul_lo_u32 v87, v81, s38
	v_add3_u32 v82, v86, v87, v82
	v_add_u32_e32 v90, v84, v81
	v_lshlrev_b32_e32 v81, 1, v82
	v_add_u32_e32 v79, v85, v79
	buffer_load_dwordx4 v[84:87], v81, s[28:31], 0 offen
	v_cmp_gt_i32_e64 s[4:5], s25, v88
	v_cmp_gt_i32_e64 s[8:9], s26, v90
	v_cmp_le_i32_e64 s[6:7], s48, v90
	s_and_b64 s[4:5], s[8:9], s[4:5]
	s_and_b64 s[8:9], s[4:5], s[6:7]
	v_cmp_le_i32_e64 s[4:5], s33, v79
	v_cmp_gt_i32_e64 s[6:7], s27, v79
	s_and_b64 s[4:5], s[4:5], s[6:7]
	s_and_b64 s[4:5], s[8:9], s[4:5]
	s_and_b64 s[4:5], vcc, s[4:5]
	v_dot2c_f32_f16_e32 v14, v4, v0
	v_dot2c_f32_f16_e32 v15, v4, v1
	;; [unrolled: 1-line block ×16, first 2 shown]
	s_waitcnt vmcnt(0)
	v_cndmask_b32_e64 v94, 0, v84, s[4:5]
	v_add_u32_e32 v84, s17, v88
	v_mul_hi_u32 v81, v84, s35
	v_add_u32_e32 v81, v84, v81
	v_cndmask_b32_e64 v93, 0, v85, s[4:5]
	v_lshrrev_b32_e32 v85, s15, v81
	v_mul_hi_u32 v81, s34, v85
	v_add_u32_e32 v81, v85, v81
	v_cndmask_b32_e64 v92, 0, v86, s[4:5]
	v_lshrrev_b32_e32 v86, s14, v81
	v_cndmask_b32_e64 v91, 0, v87, s[4:5]
	v_mad_u64_u32 v[80:81], s[4:5], v86, s10, v[80:81]
	v_sub_u32_e32 v87, v85, v80
	v_mad_u64_u32 v[80:81], s[4:5], v85, s11, v[76:77]
	v_sub_u32_e32 v76, v84, v80
	v_sub_u32_e32 v80, v86, v89
	v_mul_lo_u32 v81, v87, s12
	v_mul_lo_u32 v80, v80, s16
	;; [unrolled: 1-line block ×5, first 2 shown]
	v_add3_u32 v76, v85, v76, v86
	v_add_lshl_u32 v76, v76, v82, 1
	v_cmp_gt_i32_e64 s[4:5], s25, v84
	buffer_load_dwordx4 v[84:87], v76, s[28:31], 0 offen
	v_add_u32_e32 v81, v90, v81
	v_cmp_gt_i32_e64 s[8:9], s26, v81
	v_add_u32_e32 v79, v79, v80
	v_cmp_le_i32_e64 s[6:7], s48, v81
	s_and_b64 s[4:5], s[8:9], s[4:5]
	s_and_b64 s[8:9], s[4:5], s[6:7]
	v_cmp_le_i32_e64 s[4:5], s33, v79
	v_cmp_gt_i32_e64 s[6:7], s27, v79
	s_and_b64 s[4:5], s[4:5], s[6:7]
	s_and_b64 s[4:5], s[8:9], s[4:5]
	s_and_b64 vcc, vcc, s[4:5]
	s_and_b32 s25, s22, 0xffff
	s_mov_b32 s27, s31
	s_waitcnt vmcnt(0)
	v_cndmask_b32_e32 v82, 0, v86, vcc
	v_add_u32_e32 v86, s49, v78
	v_lshlrev_b32_e32 v78, 1, v86
	buffer_load_dwordx4 v[78:81], v78, s[40:43], 0 offen
	v_cndmask_b32_e32 v76, 0, v87, vcc
	v_cndmask_b32_e32 v85, 0, v85, vcc
	;; [unrolled: 1-line block ×3, first 2 shown]
	v_cmp_gt_i32_e32 vcc, s23, v83
	s_and_b64 vcc, vcc, s[2:3]
	s_waitcnt vmcnt(0)
	v_cndmask_b32_e32 v90, 0, v78, vcc
	v_add_u32_e32 v78, s19, v83
	v_cndmask_b32_e32 v87, 0, v81, vcc
	v_cndmask_b32_e32 v88, 0, v80, vcc
	;; [unrolled: 1-line block ×3, first 2 shown]
	v_cmp_gt_i32_e32 vcc, s23, v78
	v_add_lshl_u32 v78, v86, s19, 1
	buffer_load_dwordx4 v[78:81], v78, s[40:43], 0 offen
	s_and_b64 vcc, vcc, s[2:3]
	ds_write2st64_b32 v77, v94, v93 offset0:32 offset1:34
	ds_write2st64_b32 v77, v92, v91 offset0:36 offset1:38
	;; [unrolled: 1-line block ×4, first 2 shown]
	s_load_dwordx2 s[10:11], s[0:1], 0x198
	s_load_dword s2, s[0:1], 0x1d8
	v_or_b32_e32 v85, s18, v73
	v_add_u32_e32 v84, s13, v72
	s_mov_b32 s23, s31
	s_waitcnt lgkmcnt(0)
	v_mul_lo_u32 v72, v85, s10
	v_mad_u64_u32 v[72:73], s[4:5], v84, s11, v[72:73]
	s_lshl_b32 s26, s2, 1
	v_lshlrev_b32_e32 v73, 1, v72
	v_add_u32_e32 v86, s10, v72
	s_lshl_b32 s15, s11, 6
	s_waitcnt vmcnt(0)
	v_cndmask_b32_e32 v81, 0, v81, vcc
	v_cndmask_b32_e32 v80, 0, v80, vcc
	;; [unrolled: 1-line block ×4, first 2 shown]
	ds_write2st64_b32 v77, v90, v89 offset0:96 offset1:98
	ds_write2st64_b32 v77, v88, v87 offset0:100 offset1:102
	;; [unrolled: 1-line block ×4, first 2 shown]
	s_waitcnt lgkmcnt(0)
	s_barrier
	ds_read_b128 v[76:79], v74 offset:8192
	ds_read_b128 v[80:83], v75 offset:24576
	;; [unrolled: 1-line block ×4, first 2 shown]
	s_waitcnt lgkmcnt(2)
	v_dot2c_f32_f16_e32 v70, v76, v80
	v_dot2c_f32_f16_e32 v71, v76, v81
	;; [unrolled: 1-line block ×16, first 2 shown]
	s_waitcnt lgkmcnt(1)
	v_dot2c_f32_f16_e32 v66, v76, v0
	v_dot2c_f32_f16_e32 v67, v76, v1
	;; [unrolled: 1-line block ×16, first 2 shown]
	ds_read_b128 v[76:79], v74 offset:8704
	s_waitcnt lgkmcnt(1)
	v_dot2c_f32_f16_e32 v10, v4, v80
	v_dot2c_f32_f16_e32 v11, v4, v81
	;; [unrolled: 1-line block ×16, first 2 shown]
	ds_read_b128 v[80:83], v75 offset:25088
	v_dot2c_f32_f16_e32 v14, v4, v0
	v_dot2c_f32_f16_e32 v15, v4, v1
	;; [unrolled: 1-line block ×16, first 2 shown]
	ds_read_b128 v[0:3], v75 offset:25344
	ds_read_b128 v[4:7], v74 offset:8960
	s_waitcnt lgkmcnt(2)
	v_dot2c_f32_f16_e32 v70, v76, v80
	v_dot2c_f32_f16_e32 v71, v76, v81
	;; [unrolled: 1-line block ×16, first 2 shown]
	s_waitcnt lgkmcnt(1)
	v_dot2c_f32_f16_e32 v66, v76, v0
	v_dot2c_f32_f16_e32 v67, v76, v1
	;; [unrolled: 1-line block ×16, first 2 shown]
	ds_read_b128 v[76:79], v74 offset:9216
	s_waitcnt lgkmcnt(1)
	v_dot2c_f32_f16_e32 v10, v4, v80
	v_dot2c_f32_f16_e32 v11, v4, v81
	v_dot2c_f32_f16_e32 v8, v4, v82
	v_dot2c_f32_f16_e32 v9, v4, v83
	v_dot2c_f32_f16_e32 v22, v5, v80
	v_dot2c_f32_f16_e32 v23, v5, v81
	v_dot2c_f32_f16_e32 v18, v5, v82
	v_dot2c_f32_f16_e32 v19, v5, v83
	v_dot2c_f32_f16_e32 v26, v6, v80
	v_dot2c_f32_f16_e32 v27, v6, v81
	v_dot2c_f32_f16_e32 v24, v6, v82
	v_dot2c_f32_f16_e32 v25, v6, v83
	v_dot2c_f32_f16_e32 v42, v7, v80
	v_dot2c_f32_f16_e32 v43, v7, v81
	v_dot2c_f32_f16_e32 v38, v7, v82
	v_dot2c_f32_f16_e32 v39, v7, v83
	ds_read_b128 v[80:83], v75 offset:25600
	v_dot2c_f32_f16_e32 v14, v4, v0
	v_dot2c_f32_f16_e32 v15, v4, v1
	;; [unrolled: 1-line block ×16, first 2 shown]
	ds_read_b128 v[0:3], v75 offset:25856
	ds_read_b128 v[4:7], v74 offset:9472
	s_waitcnt lgkmcnt(2)
	v_dot2c_f32_f16_e32 v70, v76, v80
	v_dot2c_f32_f16_e32 v71, v76, v81
	;; [unrolled: 1-line block ×16, first 2 shown]
	s_waitcnt lgkmcnt(1)
	v_dot2c_f32_f16_e32 v66, v76, v0
	v_dot2c_f32_f16_e32 v67, v76, v1
	;; [unrolled: 1-line block ×16, first 2 shown]
	ds_read_b128 v[76:79], v74 offset:9728
	s_waitcnt lgkmcnt(1)
	v_dot2c_f32_f16_e32 v10, v4, v80
	v_dot2c_f32_f16_e32 v11, v4, v81
	;; [unrolled: 1-line block ×16, first 2 shown]
	ds_read_b128 v[80:83], v75 offset:26112
	v_dot2c_f32_f16_e32 v14, v4, v0
	v_dot2c_f32_f16_e32 v15, v4, v1
	;; [unrolled: 1-line block ×16, first 2 shown]
	ds_read_b128 v[0:3], v75 offset:26368
	ds_read_b128 v[4:7], v74 offset:9984
	s_waitcnt lgkmcnt(2)
	v_dot2c_f32_f16_e32 v70, v76, v80
	v_dot2c_f32_f16_e32 v71, v76, v81
	;; [unrolled: 1-line block ×16, first 2 shown]
	s_waitcnt lgkmcnt(1)
	v_dot2c_f32_f16_e32 v66, v76, v0
	v_dot2c_f32_f16_e32 v67, v76, v1
	;; [unrolled: 1-line block ×16, first 2 shown]
	ds_read_b128 v[76:79], v74 offset:10240
	s_waitcnt lgkmcnt(1)
	v_dot2c_f32_f16_e32 v10, v4, v80
	v_dot2c_f32_f16_e32 v11, v4, v81
	;; [unrolled: 1-line block ×16, first 2 shown]
	ds_read_b128 v[80:83], v75 offset:26624
	v_dot2c_f32_f16_e32 v14, v4, v0
	v_dot2c_f32_f16_e32 v15, v4, v1
	v_dot2c_f32_f16_e32 v12, v4, v2
	v_dot2c_f32_f16_e32 v13, v4, v3
	v_dot2c_f32_f16_e32 v20, v5, v0
	v_dot2c_f32_f16_e32 v21, v5, v1
	v_dot2c_f32_f16_e32 v16, v5, v2
	v_dot2c_f32_f16_e32 v17, v5, v3
	v_dot2c_f32_f16_e32 v30, v6, v0
	v_dot2c_f32_f16_e32 v31, v6, v1
	v_dot2c_f32_f16_e32 v28, v6, v2
	v_dot2c_f32_f16_e32 v29, v6, v3
	v_dot2c_f32_f16_e32 v40, v7, v0
	v_dot2c_f32_f16_e32 v41, v7, v1
	v_dot2c_f32_f16_e32 v36, v7, v2
	v_dot2c_f32_f16_e32 v37, v7, v3
	ds_read_b128 v[0:3], v75 offset:26880
	ds_read_b128 v[4:7], v74 offset:10496
	s_waitcnt lgkmcnt(2)
	v_dot2c_f32_f16_e32 v70, v76, v80
	v_dot2c_f32_f16_e32 v71, v76, v81
	;; [unrolled: 1-line block ×16, first 2 shown]
	s_waitcnt lgkmcnt(1)
	v_dot2c_f32_f16_e32 v66, v76, v0
	v_dot2c_f32_f16_e32 v67, v76, v1
	;; [unrolled: 1-line block ×16, first 2 shown]
	ds_read_b128 v[76:79], v74 offset:10752
	s_waitcnt lgkmcnt(1)
	v_dot2c_f32_f16_e32 v10, v4, v80
	v_dot2c_f32_f16_e32 v11, v4, v81
	;; [unrolled: 1-line block ×16, first 2 shown]
	ds_read_b128 v[80:83], v75 offset:27136
	v_dot2c_f32_f16_e32 v14, v4, v0
	v_dot2c_f32_f16_e32 v15, v4, v1
	;; [unrolled: 1-line block ×16, first 2 shown]
	ds_read_b128 v[0:3], v75 offset:27392
	ds_read_b128 v[4:7], v74 offset:11008
	s_waitcnt lgkmcnt(2)
	v_dot2c_f32_f16_e32 v70, v76, v80
	v_dot2c_f32_f16_e32 v71, v76, v81
	;; [unrolled: 1-line block ×16, first 2 shown]
	s_waitcnt lgkmcnt(1)
	v_dot2c_f32_f16_e32 v66, v76, v0
	v_dot2c_f32_f16_e32 v67, v76, v1
	;; [unrolled: 1-line block ×16, first 2 shown]
	ds_read_b128 v[76:79], v74 offset:11264
	s_waitcnt lgkmcnt(1)
	v_dot2c_f32_f16_e32 v10, v4, v80
	v_dot2c_f32_f16_e32 v11, v4, v81
	;; [unrolled: 1-line block ×16, first 2 shown]
	ds_read_b128 v[80:83], v75 offset:27648
	v_dot2c_f32_f16_e32 v14, v4, v0
	v_dot2c_f32_f16_e32 v15, v4, v1
	;; [unrolled: 1-line block ×16, first 2 shown]
	ds_read_b128 v[0:3], v75 offset:27904
	ds_read_b128 v[4:7], v74 offset:11520
	s_waitcnt lgkmcnt(2)
	v_dot2c_f32_f16_e32 v70, v76, v80
	v_dot2c_f32_f16_e32 v71, v76, v81
	v_dot2c_f32_f16_e32 v68, v76, v82
	v_dot2c_f32_f16_e32 v69, v76, v83
	v_dot2c_f32_f16_e32 v58, v77, v80
	v_dot2c_f32_f16_e32 v59, v77, v81
	v_dot2c_f32_f16_e32 v56, v77, v82
	v_dot2c_f32_f16_e32 v57, v77, v83
	v_dot2c_f32_f16_e32 v54, v78, v80
	v_dot2c_f32_f16_e32 v55, v78, v81
	v_dot2c_f32_f16_e32 v50, v78, v82
	v_dot2c_f32_f16_e32 v51, v78, v83
	v_dot2c_f32_f16_e32 v34, v79, v80
	v_dot2c_f32_f16_e32 v35, v79, v81
	v_dot2c_f32_f16_e32 v32, v79, v82
	v_dot2c_f32_f16_e32 v33, v79, v83
	s_waitcnt lgkmcnt(1)
	v_dot2c_f32_f16_e32 v66, v76, v0
	v_dot2c_f32_f16_e32 v67, v76, v1
	;; [unrolled: 1-line block ×16, first 2 shown]
	ds_read_b128 v[76:79], v74 offset:11776
	s_waitcnt lgkmcnt(1)
	v_dot2c_f32_f16_e32 v10, v4, v80
	v_dot2c_f32_f16_e32 v11, v4, v81
	;; [unrolled: 1-line block ×16, first 2 shown]
	ds_read_b128 v[80:83], v75 offset:28160
	v_dot2c_f32_f16_e32 v14, v4, v0
	v_dot2c_f32_f16_e32 v15, v4, v1
	;; [unrolled: 1-line block ×16, first 2 shown]
	ds_read_b128 v[0:3], v75 offset:28416
	ds_read_b128 v[4:7], v74 offset:12032
	s_waitcnt lgkmcnt(2)
	v_dot2c_f32_f16_e32 v70, v76, v80
	v_dot2c_f32_f16_e32 v71, v76, v81
	;; [unrolled: 1-line block ×16, first 2 shown]
	s_waitcnt lgkmcnt(1)
	v_dot2c_f32_f16_e32 v66, v76, v0
	v_dot2c_f32_f16_e32 v67, v76, v1
	;; [unrolled: 1-line block ×16, first 2 shown]
	ds_read_b128 v[76:79], v74 offset:12288
	s_waitcnt lgkmcnt(1)
	v_dot2c_f32_f16_e32 v10, v4, v80
	v_dot2c_f32_f16_e32 v11, v4, v81
	;; [unrolled: 1-line block ×16, first 2 shown]
	ds_read_b128 v[80:83], v75 offset:28672
	v_dot2c_f32_f16_e32 v14, v4, v0
	v_dot2c_f32_f16_e32 v15, v4, v1
	;; [unrolled: 1-line block ×16, first 2 shown]
	ds_read_b128 v[0:3], v75 offset:28928
	ds_read_b128 v[4:7], v74 offset:12544
	s_waitcnt lgkmcnt(2)
	v_dot2c_f32_f16_e32 v70, v76, v80
	v_dot2c_f32_f16_e32 v71, v76, v81
	;; [unrolled: 1-line block ×16, first 2 shown]
	s_waitcnt lgkmcnt(1)
	v_dot2c_f32_f16_e32 v66, v76, v0
	v_dot2c_f32_f16_e32 v67, v76, v1
	;; [unrolled: 1-line block ×16, first 2 shown]
	ds_read_b128 v[76:79], v74 offset:12800
	s_waitcnt lgkmcnt(1)
	v_dot2c_f32_f16_e32 v10, v4, v80
	v_dot2c_f32_f16_e32 v11, v4, v81
	;; [unrolled: 1-line block ×16, first 2 shown]
	ds_read_b128 v[80:83], v75 offset:29184
	v_dot2c_f32_f16_e32 v14, v4, v0
	v_dot2c_f32_f16_e32 v15, v4, v1
	;; [unrolled: 1-line block ×16, first 2 shown]
	ds_read_b128 v[0:3], v75 offset:29440
	ds_read_b128 v[4:7], v74 offset:13056
	s_waitcnt lgkmcnt(2)
	v_dot2c_f32_f16_e32 v70, v76, v80
	v_dot2c_f32_f16_e32 v71, v76, v81
	;; [unrolled: 1-line block ×16, first 2 shown]
	s_waitcnt lgkmcnt(1)
	v_dot2c_f32_f16_e32 v66, v76, v0
	v_dot2c_f32_f16_e32 v67, v76, v1
	;; [unrolled: 1-line block ×16, first 2 shown]
	ds_read_b128 v[76:79], v74 offset:13312
	s_waitcnt lgkmcnt(1)
	v_dot2c_f32_f16_e32 v10, v4, v80
	v_dot2c_f32_f16_e32 v11, v4, v81
	;; [unrolled: 1-line block ×16, first 2 shown]
	ds_read_b128 v[80:83], v75 offset:29696
	v_dot2c_f32_f16_e32 v14, v4, v0
	v_dot2c_f32_f16_e32 v15, v4, v1
	;; [unrolled: 1-line block ×16, first 2 shown]
	ds_read_b128 v[0:3], v75 offset:29952
	ds_read_b128 v[4:7], v74 offset:13568
	s_waitcnt lgkmcnt(2)
	v_dot2c_f32_f16_e32 v70, v76, v80
	v_dot2c_f32_f16_e32 v71, v76, v81
	;; [unrolled: 1-line block ×16, first 2 shown]
	s_waitcnt lgkmcnt(1)
	v_dot2c_f32_f16_e32 v66, v76, v0
	v_dot2c_f32_f16_e32 v67, v76, v1
	;; [unrolled: 1-line block ×16, first 2 shown]
	ds_read_b128 v[76:79], v74 offset:13824
	s_waitcnt lgkmcnt(1)
	v_dot2c_f32_f16_e32 v10, v4, v80
	v_dot2c_f32_f16_e32 v11, v4, v81
	;; [unrolled: 1-line block ×16, first 2 shown]
	ds_read_b128 v[80:83], v75 offset:30208
	v_dot2c_f32_f16_e32 v14, v4, v0
	v_dot2c_f32_f16_e32 v15, v4, v1
	;; [unrolled: 1-line block ×16, first 2 shown]
	ds_read_b128 v[0:3], v75 offset:30464
	ds_read_b128 v[4:7], v74 offset:14080
	s_waitcnt lgkmcnt(2)
	v_dot2c_f32_f16_e32 v70, v76, v80
	v_dot2c_f32_f16_e32 v71, v76, v81
	;; [unrolled: 1-line block ×16, first 2 shown]
	s_waitcnt lgkmcnt(1)
	v_dot2c_f32_f16_e32 v66, v76, v0
	v_dot2c_f32_f16_e32 v67, v76, v1
	;; [unrolled: 1-line block ×16, first 2 shown]
	ds_read_b128 v[76:79], v74 offset:14336
	s_waitcnt lgkmcnt(1)
	v_dot2c_f32_f16_e32 v10, v4, v80
	v_dot2c_f32_f16_e32 v11, v4, v81
	;; [unrolled: 1-line block ×16, first 2 shown]
	ds_read_b128 v[80:83], v75 offset:30720
	v_dot2c_f32_f16_e32 v14, v4, v0
	v_dot2c_f32_f16_e32 v15, v4, v1
	v_dot2c_f32_f16_e32 v12, v4, v2
	v_dot2c_f32_f16_e32 v13, v4, v3
	v_dot2c_f32_f16_e32 v20, v5, v0
	v_dot2c_f32_f16_e32 v21, v5, v1
	v_dot2c_f32_f16_e32 v16, v5, v2
	v_dot2c_f32_f16_e32 v17, v5, v3
	v_dot2c_f32_f16_e32 v30, v6, v0
	v_dot2c_f32_f16_e32 v31, v6, v1
	v_dot2c_f32_f16_e32 v28, v6, v2
	v_dot2c_f32_f16_e32 v29, v6, v3
	v_dot2c_f32_f16_e32 v40, v7, v0
	v_dot2c_f32_f16_e32 v41, v7, v1
	v_dot2c_f32_f16_e32 v36, v7, v2
	v_dot2c_f32_f16_e32 v37, v7, v3
	ds_read_b128 v[0:3], v75 offset:30976
	ds_read_b128 v[4:7], v74 offset:14592
	s_waitcnt lgkmcnt(2)
	v_dot2c_f32_f16_e32 v70, v76, v80
	v_dot2c_f32_f16_e32 v71, v76, v81
	;; [unrolled: 1-line block ×16, first 2 shown]
	s_waitcnt lgkmcnt(1)
	v_dot2c_f32_f16_e32 v66, v76, v0
	v_dot2c_f32_f16_e32 v67, v76, v1
	;; [unrolled: 1-line block ×16, first 2 shown]
	ds_read_b128 v[76:79], v74 offset:14848
	s_waitcnt lgkmcnt(1)
	v_dot2c_f32_f16_e32 v10, v4, v80
	v_dot2c_f32_f16_e32 v11, v4, v81
	;; [unrolled: 1-line block ×16, first 2 shown]
	ds_read_b128 v[80:83], v75 offset:31232
	v_dot2c_f32_f16_e32 v14, v4, v0
	v_dot2c_f32_f16_e32 v15, v4, v1
	;; [unrolled: 1-line block ×16, first 2 shown]
	ds_read_b128 v[0:3], v75 offset:31488
	ds_read_b128 v[4:7], v74 offset:15104
	s_waitcnt lgkmcnt(2)
	v_dot2c_f32_f16_e32 v70, v76, v80
	v_dot2c_f32_f16_e32 v71, v76, v81
	;; [unrolled: 1-line block ×16, first 2 shown]
	s_waitcnt lgkmcnt(1)
	v_dot2c_f32_f16_e32 v66, v76, v0
	v_dot2c_f32_f16_e32 v67, v76, v1
	;; [unrolled: 1-line block ×16, first 2 shown]
	ds_read_b128 v[76:79], v74 offset:15360
	s_waitcnt lgkmcnt(1)
	v_dot2c_f32_f16_e32 v10, v4, v80
	v_dot2c_f32_f16_e32 v11, v4, v81
	;; [unrolled: 1-line block ×16, first 2 shown]
	ds_read_b128 v[80:83], v75 offset:31744
	v_dot2c_f32_f16_e32 v14, v4, v0
	v_dot2c_f32_f16_e32 v15, v4, v1
	;; [unrolled: 1-line block ×16, first 2 shown]
	ds_read_b128 v[0:3], v75 offset:32000
	ds_read_b128 v[4:7], v74 offset:15616
	s_waitcnt lgkmcnt(2)
	v_dot2c_f32_f16_e32 v70, v76, v80
	v_dot2c_f32_f16_e32 v71, v76, v81
	;; [unrolled: 1-line block ×16, first 2 shown]
	s_waitcnt lgkmcnt(1)
	v_dot2c_f32_f16_e32 v66, v76, v0
	v_dot2c_f32_f16_e32 v67, v76, v1
	;; [unrolled: 1-line block ×16, first 2 shown]
	ds_read_b128 v[76:79], v74 offset:15872
	s_waitcnt lgkmcnt(1)
	v_dot2c_f32_f16_e32 v10, v4, v80
	v_dot2c_f32_f16_e32 v11, v4, v81
	;; [unrolled: 1-line block ×16, first 2 shown]
	ds_read_b128 v[80:83], v75 offset:32256
	v_dot2c_f32_f16_e32 v14, v4, v0
	v_dot2c_f32_f16_e32 v15, v4, v1
	;; [unrolled: 1-line block ×16, first 2 shown]
	ds_read_b128 v[0:3], v75 offset:32512
	ds_read_b128 v[4:7], v74 offset:16128
	buffer_load_dwordx2 v[74:75], v73, s[24:27], 0 offen
	s_waitcnt lgkmcnt(2)
	v_dot2c_f32_f16_e32 v68, v76, v82
	v_dot2c_f32_f16_e32 v56, v77, v82
	;; [unrolled: 1-line block ×4, first 2 shown]
	s_waitcnt lgkmcnt(0)
	v_dot2c_f32_f16_e32 v8, v4, v82
	v_dot2c_f32_f16_e32 v18, v5, v82
	;; [unrolled: 1-line block ×4, first 2 shown]
	v_add_u32_e32 v82, s10, v86
	v_dot2c_f32_f16_e32 v70, v76, v80
	v_dot2c_f32_f16_e32 v58, v77, v80
	;; [unrolled: 1-line block ×8, first 2 shown]
	v_lshlrev_b32_e32 v80, 1, v82
	v_dot2c_f32_f16_e32 v71, v76, v81
	v_dot2c_f32_f16_e32 v59, v77, v81
	;; [unrolled: 1-line block ×8, first 2 shown]
	buffer_load_dwordx2 v[80:81], v80, s[24:27], 0 offen
	v_add_lshl_u32 v73, v72, s15, 1
	v_dot2c_f32_f16_e32 v69, v76, v83
	v_dot2c_f32_f16_e32 v57, v77, v83
	;; [unrolled: 1-line block ×10, first 2 shown]
	buffer_load_dwordx2 v[76:77], v73, s[24:27], 0 offen
	v_dot2c_f32_f16_e32 v51, v78, v83
	v_dot2c_f32_f16_e32 v52, v78, v0
	;; [unrolled: 1-line block ×5, first 2 shown]
	v_lshlrev_b32_e32 v72, 1, v86
	v_add_lshl_u32 v78, v86, s15, 1
	v_dot2c_f32_f16_e32 v33, v79, v83
	v_dot2c_f32_f16_e32 v46, v79, v0
	;; [unrolled: 1-line block ×5, first 2 shown]
	buffer_load_dwordx2 v[72:73], v72, s[24:27], 0 offen
	v_dot2c_f32_f16_e32 v14, v4, v0
	buffer_load_dwordx2 v[78:79], v78, s[24:27], 0 offen
	v_dot2c_f32_f16_e32 v20, v5, v0
	v_dot2c_f32_f16_e32 v30, v6, v0
	v_dot2c_f32_f16_e32 v40, v7, v0
	v_add_lshl_u32 v0, v82, s15, 1
	v_dot2c_f32_f16_e32 v12, v4, v2
	v_dot2c_f32_f16_e32 v13, v4, v3
	;; [unrolled: 1-line block ×8, first 2 shown]
	buffer_load_dwordx2 v[2:3], v0, s[24:27], 0 offen
	s_load_dword s6, s[0:1], 0x1b0
	s_load_dword s16, s[0:1], 0x1a4
	v_dot2c_f32_f16_e32 v9, v4, v83
	v_dot2c_f32_f16_e32 v15, v4, v1
	v_add_u32_e32 v4, s10, v82
	s_waitcnt lgkmcnt(0)
	v_cmp_gt_i32_e64 s[2:3], s6, v84
	v_cmp_gt_i32_e32 vcc, s16, v85
	s_and_b64 s[4:5], vcc, s[2:3]
	v_dot2c_f32_f16_e32 v21, v5, v1
	v_dot2c_f32_f16_e32 v31, v6, v1
	;; [unrolled: 1-line block ×3, first 2 shown]
	v_lshlrev_b32_e32 v0, 1, v4
	v_dot2c_f32_f16_e32 v19, v5, v83
	s_waitcnt vmcnt(5)
	v_cndmask_b32_e64 v1, 0, v74, s[4:5]
	v_add_lshl_u32 v74, v4, s15, 1
	v_dot2c_f32_f16_e32 v25, v6, v83
	v_dot2c_f32_f16_e32 v39, v7, v83
	buffer_load_dwordx2 v[6:7], v0, s[24:27], 0 offen
	v_cndmask_b32_e64 v5, 0, v75, s[4:5]
	buffer_load_dwordx2 v[74:75], v74, s[24:27], 0 offen
	v_cvt_f32_f16_e32 v0, v1
	v_cvt_f32_f16_sdwa v1, v1 dst_sel:DWORD dst_unused:UNUSED_PAD src0_sel:WORD_1
	v_add_u32_e32 v82, 64, v84
	v_cmp_gt_i32_e64 s[4:5], s6, v82
	s_load_dwordx2 s[12:13], s[0:1], 0x1e8
	s_load_dword s14, s[0:1], 0x1f4
	s_load_dword s11, s[0:1], 0x200
	;; [unrolled: 1-line block ×3, first 2 shown]
	v_pk_add_f32 v[0:1], v[70:71], v[0:1]
	v_cvt_f32_f16_e32 v70, v5
	v_cvt_f32_f16_sdwa v71, v5 dst_sel:DWORD dst_unused:UNUSED_PAD src0_sel:WORD_1
	s_and_b64 vcc, vcc, s[4:5]
	v_or_b32_e32 v83, 1, v85
	v_max_f32_e32 v1, 0, v1
	v_pk_add_f32 v[68:69], v[68:69], v[70:71]
	v_max_f32_e32 v0, 0, v0
	v_cvt_pk_f16_f32 v70, v0, v1
	v_max_f32_e32 v0, 0, v69
	v_max_f32_e32 v1, 0, v68
	v_cvt_pk_f16_f32 v71, v1, v0
	s_waitcnt lgkmcnt(0)
	v_mul_lo_u32 v0, v85, s12
	v_cmp_gt_i32_e64 s[6:7], s14, v85
	s_lshl_b32 s22, s8, 1
	s_waitcnt vmcnt(5)
	v_cndmask_b32_e32 v77, 0, v77, vcc
	v_cndmask_b32_e32 v76, 0, v76, vcc
	v_cmp_gt_i32_e32 vcc, s16, v83
	s_and_b64 s[0:1], vcc, s[2:3]
	s_and_b64 vcc, vcc, s[4:5]
	s_waitcnt vmcnt(4)
	v_cndmask_b32_e64 v73, 0, v73, s[0:1]
	v_cndmask_b32_e64 v72, 0, v72, s[0:1]
	s_waitcnt vmcnt(3)
	v_cndmask_b32_e32 v79, 0, v79, vcc
	v_cndmask_b32_e32 v78, 0, v78, vcc
	v_mad_u64_u32 v[68:69], s[0:1], v84, s13, v[0:1]
	v_cmp_gt_i32_e32 vcc, s11, v84
	v_bfrev_b32_e32 v0, 1
	s_and_b64 s[0:1], s[6:7], vcc
	v_or_b32_e32 v69, 2, v85
	v_cndmask_b32_e64 v1, v0, 0, s[0:1]
	v_cmp_gt_i32_e64 s[0:1], s16, v69
	s_and_b64 s[8:9], s[0:1], s[2:3]
	s_and_b64 s[0:1], s[0:1], s[4:5]
	v_lshl_add_u32 v1, v68, 1, v1
	s_waitcnt vmcnt(2)
	v_cndmask_b32_e64 v84, 0, v3, s[0:1]
	v_cndmask_b32_e64 v86, 0, v2, s[0:1]
	v_cvt_f32_f16_e32 v2, v76
	v_cvt_f32_f16_sdwa v3, v76 dst_sel:DWORD dst_unused:UNUSED_PAD src0_sel:WORD_1
	v_mad_u64_u32 v[4:5], s[0:1], s10, 61, v[4:5]
	buffer_store_dwordx2 v[70:71], v1, s[20:23], 0 offen
	v_pk_add_f32 v[2:3], v[66:67], v[2:3]
	v_cvt_f32_f16_e32 v66, v77
	v_cvt_f32_f16_sdwa v67, v77 dst_sel:DWORD dst_unused:UNUSED_PAD src0_sel:WORD_1
	v_lshlrev_b32_e32 v1, 1, v4
	buffer_load_dwordx2 v[70:71], v1, s[24:27], 0 offen
	v_add_lshl_u32 v1, v4, s15, 1
	v_pk_add_f32 v[64:65], v[64:65], v[66:67]
	v_add_u32_e32 v77, s10, v4
	v_max_f32_e32 v3, 0, v3
	v_max_f32_e32 v2, 0, v2
	;; [unrolled: 1-line block ×4, first 2 shown]
	v_cvt_pk_f16_f32 v2, v2, v3
	v_cvt_pk_f16_f32 v3, v5, v4
	buffer_load_dwordx2 v[4:5], v1, s[24:27], 0 offen
	v_lshlrev_b32_e32 v64, 1, v77
	buffer_load_dwordx2 v[64:65], v64, s[24:27], 0 offen
	v_or_b32_e32 v66, 3, v85
	v_cmp_gt_i32_e64 s[0:1], s16, v66
	v_cndmask_b32_e64 v81, 0, v81, s[8:9]
	v_cndmask_b32_e64 v80, 0, v80, s[8:9]
	s_and_b64 s[8:9], s[0:1], s[2:3]
	s_and_b64 s[0:1], s[0:1], s[4:5]
	s_waitcnt vmcnt(4)
	v_cndmask_b32_e64 v75, 0, v75, s[0:1]
	v_cndmask_b32_e64 v74, 0, v74, s[0:1]
	v_cmp_gt_i32_e64 s[0:1], s11, v82
	v_cndmask_b32_e64 v67, 0, v7, s[8:9]
	v_cndmask_b32_e64 v76, 0, v6, s[8:9]
	s_lshl_b32 s13, s13, 6
	s_and_b64 s[6:7], s[6:7], s[0:1]
	v_cvt_f32_f16_e32 v6, v78
	v_cvt_f32_f16_sdwa v7, v78 dst_sel:DWORD dst_unused:UNUSED_PAD src0_sel:WORD_1
	v_add_u32_e32 v87, s13, v68
	v_cndmask_b32_e64 v1, v0, 0, s[6:7]
	v_lshl_add_u32 v1, v87, 1, v1
	buffer_store_dwordx2 v[2:3], v1, s[20:23], 0 offen
	v_or_b32_e32 v1, 64, v85
	v_cmp_gt_i32_e64 s[6:7], s16, v1
	v_pk_add_f32 v[6:7], v[62:63], v[6:7]
	v_cvt_f32_f16_e32 v62, v79
	v_cvt_f32_f16_sdwa v63, v79 dst_sel:DWORD dst_unused:UNUSED_PAD src0_sel:WORD_1
	s_and_b64 s[8:9], s[6:7], s[2:3]
	s_and_b64 s[6:7], s[6:7], s[4:5]
	v_or_b32_e32 v79, 0x41, v85
	v_add_lshl_u32 v78, v77, s15, 1
	v_max_f32_e32 v7, 0, v7
	v_max_f32_e32 v6, 0, v6
	v_add_u32_e32 v77, s10, v77
	v_cvt_pk_f16_f32 v6, v6, v7
	v_add_u32_e32 v68, s12, v68
	s_waitcnt vmcnt(3)
	v_cndmask_b32_e64 v2, 0, v71, s[8:9]
	v_cndmask_b32_e64 v3, 0, v70, s[8:9]
	s_waitcnt vmcnt(2)
	v_cndmask_b32_e64 v70, 0, v5, s[6:7]
	v_cndmask_b32_e64 v71, 0, v4, s[6:7]
	v_cmp_gt_i32_e64 s[6:7], s16, v79
	s_and_b64 s[8:9], s[6:7], s[2:3]
	v_pk_add_f32 v[4:5], v[60:61], v[62:63]
	s_waitcnt vmcnt(1)
	v_cndmask_b32_e64 v65, 0, v65, s[8:9]
	v_cndmask_b32_e64 v64, 0, v64, s[8:9]
	v_cmp_gt_i32_e64 s[8:9], s14, v83
	v_max_f32_e32 v60, 0, v5
	v_max_f32_e32 v61, 0, v4
	buffer_load_dwordx2 v[4:5], v78, s[24:27], 0 offen
	s_and_b64 s[18:19], s[8:9], s[0:1]
	v_cvt_pk_f16_f32 v7, v61, v60
	v_add_u32_e32 v78, s12, v87
	v_cndmask_b32_e64 v61, v0, 0, s[18:19]
	v_lshlrev_b32_e32 v60, 1, v77
	v_lshl_add_u32 v61, v78, 1, v61
	buffer_store_dwordx2 v[6:7], v61, s[20:23], 0 offen
	buffer_load_dwordx2 v[6:7], v60, s[24:27], 0 offen
	v_add_lshl_u32 v62, v77, s15, 1
	v_cvt_f32_f16_sdwa v61, v72 dst_sel:DWORD dst_unused:UNUSED_PAD src0_sel:WORD_1
	buffer_load_dwordx2 v[62:63], v62, s[24:27], 0 offen
	v_cvt_f32_f16_e32 v60, v72
	s_and_b64 s[6:7], s[6:7], s[4:5]
	v_add_u32_e32 v77, s10, v77
	v_lshlrev_b32_e32 v82, 1, v77
	v_pk_add_f32 v[58:59], v[58:59], v[60:61]
	v_cvt_f32_f16_e32 v60, v73
	v_cvt_f32_f16_sdwa v61, v73 dst_sel:DWORD dst_unused:UNUSED_PAD src0_sel:WORD_1
	s_waitcnt vmcnt(3)
	v_cndmask_b32_e64 v72, 0, v5, s[6:7]
	v_cndmask_b32_e64 v73, 0, v4, s[6:7]
	v_pk_add_f32 v[4:5], v[56:57], v[60:61]
	v_or_b32_e32 v56, 0x42, v85
	v_cmp_gt_i32_e64 s[6:7], s16, v56
	s_and_b64 s[10:11], s[6:7], s[2:3]
	s_and_b64 s[6:7], s[6:7], s[4:5]
	v_max_f32_e32 v5, 0, v5
	s_waitcnt vmcnt(1)
	v_cndmask_b32_e64 v57, 0, v7, s[10:11]
	v_cndmask_b32_e64 v60, 0, v6, s[10:11]
	buffer_load_dwordx2 v[6:7], v82, s[24:27], 0 offen
	s_waitcnt vmcnt(1)
	v_cndmask_b32_e64 v61, 0, v63, s[6:7]
	v_or_b32_e32 v63, 0x43, v85
	v_cndmask_b32_e64 v62, 0, v62, s[6:7]
	v_cmp_gt_i32_e64 s[6:7], s16, v63
	s_and_b64 s[2:3], s[6:7], s[2:3]
	s_waitcnt vmcnt(0)
	v_cndmask_b32_e64 v83, 0, v6, s[2:3]
	v_add_lshl_u32 v6, v77, s15, 1
	v_cndmask_b32_e64 v82, 0, v7, s[2:3]
	buffer_load_dwordx2 v[6:7], v6, s[24:27], 0 offen
	s_and_b64 s[2:3], s[6:7], s[4:5]
	s_lshl_b32 s6, s12, 6
	s_waitcnt vmcnt(0)
	v_cndmask_b32_e64 v77, 0, v7, s[2:3]
	v_cndmask_b32_e64 v85, 0, v6, s[2:3]
	v_max_f32_e32 v6, 0, v59
	v_max_f32_e32 v7, 0, v58
	v_max_f32_e32 v58, 0, v4
	v_cvt_pk_f16_f32 v4, v7, v6
	v_cvt_f32_f16_e32 v6, v80
	v_cvt_f32_f16_sdwa v7, v80 dst_sel:DWORD dst_unused:UNUSED_PAD src0_sel:WORD_1
	s_and_b64 s[2:3], s[8:9], vcc
	v_cvt_pk_f16_f32 v5, v58, v5
	v_cndmask_b32_e64 v58, v0, 0, s[2:3]
	v_lshl_add_u32 v58, v68, 1, v58
	buffer_store_dwordx2 v[4:5], v58, s[20:23], 0 offen
	v_pk_add_f32 v[4:5], v[54:55], v[6:7]
	v_cvt_f32_f16_e32 v6, v81
	v_cvt_f32_f16_sdwa v7, v81 dst_sel:DWORD dst_unused:UNUSED_PAD src0_sel:WORD_1
	v_max_f32_e32 v5, 0, v5
	v_max_f32_e32 v4, 0, v4
	v_cvt_pk_f16_f32 v4, v4, v5
	v_pk_add_f32 v[6:7], v[50:51], v[6:7]
	v_cmp_gt_i32_e64 s[2:3], s14, v69
	v_max_f32_e32 v5, 0, v7
	v_max_f32_e32 v6, 0, v6
	v_cvt_pk_f16_f32 v5, v6, v5
	v_cvt_f32_f16_e32 v6, v86
	v_cvt_f32_f16_sdwa v7, v86 dst_sel:DWORD dst_unused:UNUSED_PAD src0_sel:WORD_1
	s_and_b64 s[4:5], s[2:3], vcc
	v_add_u32_e32 v58, s12, v68
	v_cndmask_b32_e64 v50, v0, 0, s[4:5]
	v_lshl_add_u32 v50, v58, 1, v50
	buffer_store_dwordx2 v[4:5], v50, s[20:23], 0 offen
	v_pk_add_f32 v[4:5], v[52:53], v[6:7]
	v_cvt_f32_f16_e32 v6, v84
	v_cvt_f32_f16_sdwa v7, v84 dst_sel:DWORD dst_unused:UNUSED_PAD src0_sel:WORD_1
	v_max_f32_e32 v5, 0, v5
	v_max_f32_e32 v4, 0, v4
	v_cvt_pk_f16_f32 v4, v4, v5
	v_pk_add_f32 v[6:7], v[48:49], v[6:7]
	s_and_b64 s[2:3], s[2:3], s[0:1]
	v_max_f32_e32 v5, 0, v7
	v_max_f32_e32 v6, 0, v6
	v_cvt_pk_f16_f32 v5, v6, v5
	v_cvt_f32_f16_e32 v6, v74
	v_cvt_f32_f16_sdwa v7, v74 dst_sel:DWORD dst_unused:UNUSED_PAD src0_sel:WORD_1
	v_add_u32_e32 v50, s12, v78
	v_cndmask_b32_e64 v48, v0, 0, s[2:3]
	v_lshl_add_u32 v48, v50, 1, v48
	buffer_store_dwordx2 v[4:5], v48, s[20:23], 0 offen
	v_pk_add_f32 v[4:5], v[46:47], v[6:7]
	v_cvt_f32_f16_e32 v6, v75
	v_cvt_f32_f16_sdwa v7, v75 dst_sel:DWORD dst_unused:UNUSED_PAD src0_sel:WORD_1
	v_max_f32_e32 v5, 0, v5
	v_max_f32_e32 v4, 0, v4
	v_cvt_pk_f16_f32 v4, v4, v5
	v_pk_add_f32 v[6:7], v[44:45], v[6:7]
	v_cmp_gt_i32_e64 s[2:3], s14, v66
	v_max_f32_e32 v5, 0, v7
	v_max_f32_e32 v6, 0, v6
	v_cvt_pk_f16_f32 v5, v6, v5
	v_cvt_f32_f16_e32 v6, v76
	v_cvt_f32_f16_sdwa v7, v76 dst_sel:DWORD dst_unused:UNUSED_PAD src0_sel:WORD_1
	s_and_b64 s[4:5], s[2:3], s[0:1]
	v_add_u32_e32 v48, s12, v50
	v_cndmask_b32_e64 v44, v0, 0, s[4:5]
	v_lshl_add_u32 v44, v48, 1, v44
	buffer_store_dwordx2 v[4:5], v44, s[20:23], 0 offen
	v_pk_add_f32 v[4:5], v[34:35], v[6:7]
	v_cvt_f32_f16_e32 v6, v67
	v_cvt_f32_f16_sdwa v7, v67 dst_sel:DWORD dst_unused:UNUSED_PAD src0_sel:WORD_1
	v_max_f32_e32 v5, 0, v5
	v_max_f32_e32 v4, 0, v4
	v_cvt_pk_f16_f32 v4, v4, v5
	v_pk_add_f32 v[6:7], v[32:33], v[6:7]
	s_and_b64 s[2:3], s[2:3], vcc
	v_max_f32_e32 v5, 0, v7
	v_max_f32_e32 v6, 0, v6
	v_subrev_u32_e32 v44, s13, v48
	v_cvt_pk_f16_f32 v5, v6, v5
	v_cndmask_b32_e64 v6, v0, 0, s[2:3]
	v_lshl_add_u32 v32, v44, 1, v6
	v_cvt_f32_f16_e32 v6, v83
	v_cvt_f32_f16_sdwa v7, v83 dst_sel:DWORD dst_unused:UNUSED_PAD src0_sel:WORD_1
	buffer_store_dwordx2 v[4:5], v32, s[20:23], 0 offen
	v_cmp_gt_i32_e64 s[2:3], s14, v63
	s_and_b64 s[4:5], s[2:3], vcc
	v_pk_add_f32 v[4:5], v[42:43], v[6:7]
	v_cvt_f32_f16_e32 v6, v82
	v_cvt_f32_f16_sdwa v7, v82 dst_sel:DWORD dst_unused:UNUSED_PAD src0_sel:WORD_1
	v_max_f32_e32 v5, 0, v5
	v_max_f32_e32 v4, 0, v4
	v_cvt_pk_f16_f32 v4, v4, v5
	v_pk_add_f32 v[6:7], v[38:39], v[6:7]
	v_add_u32_e32 v32, s6, v44
	v_max_f32_e32 v5, 0, v7
	v_max_f32_e32 v6, 0, v6
	v_cvt_pk_f16_f32 v5, v6, v5
	v_cvt_f32_f16_e32 v6, v85
	v_cvt_f32_f16_sdwa v7, v85 dst_sel:DWORD dst_unused:UNUSED_PAD src0_sel:WORD_1
	v_cndmask_b32_e64 v33, v0, 0, s[4:5]
	v_lshl_add_u32 v32, v32, 1, v33
	buffer_store_dwordx2 v[4:5], v32, s[20:23], 0 offen
	v_pk_add_f32 v[4:5], v[40:41], v[6:7]
	v_cvt_f32_f16_e32 v6, v77
	v_cvt_f32_f16_sdwa v7, v77 dst_sel:DWORD dst_unused:UNUSED_PAD src0_sel:WORD_1
	v_max_f32_e32 v5, 0, v5
	v_max_f32_e32 v4, 0, v4
	v_cvt_pk_f16_f32 v4, v4, v5
	v_pk_add_f32 v[6:7], v[36:37], v[6:7]
	s_and_b64 s[2:3], s[2:3], s[0:1]
	v_max_f32_e32 v5, 0, v7
	v_max_f32_e32 v6, 0, v6
	v_cvt_pk_f16_f32 v5, v6, v5
	v_cvt_f32_f16_e32 v6, v62
	v_cvt_f32_f16_sdwa v7, v62 dst_sel:DWORD dst_unused:UNUSED_PAD src0_sel:WORD_1
	v_add_u32_e32 v32, s6, v48
	v_cndmask_b32_e64 v33, v0, 0, s[2:3]
	v_lshl_add_u32 v32, v32, 1, v33
	buffer_store_dwordx2 v[4:5], v32, s[20:23], 0 offen
	v_pk_add_f32 v[4:5], v[30:31], v[6:7]
	v_cvt_f32_f16_e32 v6, v61
	v_cvt_f32_f16_sdwa v7, v61 dst_sel:DWORD dst_unused:UNUSED_PAD src0_sel:WORD_1
	v_max_f32_e32 v5, 0, v5
	v_max_f32_e32 v4, 0, v4
	v_cvt_pk_f16_f32 v4, v4, v5
	v_pk_add_f32 v[6:7], v[28:29], v[6:7]
	v_cmp_ge_i32_e64 s[2:3], s14, v63
	v_max_f32_e32 v5, 0, v7
	v_max_f32_e32 v6, 0, v6
	v_cvt_pk_f16_f32 v5, v6, v5
	v_cvt_f32_f16_e32 v6, v60
	v_cvt_f32_f16_sdwa v7, v60 dst_sel:DWORD dst_unused:UNUSED_PAD src0_sel:WORD_1
	s_and_b64 s[2:3], s[2:3], s[0:1]
	v_add_u32_e32 v32, s6, v50
	v_cndmask_b32_e64 v28, v0, 0, s[2:3]
	v_lshl_add_u32 v28, v32, 1, v28
	buffer_store_dwordx2 v[4:5], v28, s[20:23], 0 offen
	v_pk_add_f32 v[4:5], v[26:27], v[6:7]
	v_cvt_f32_f16_e32 v6, v57
	v_cvt_f32_f16_sdwa v7, v57 dst_sel:DWORD dst_unused:UNUSED_PAD src0_sel:WORD_1
	v_max_f32_e32 v5, 0, v5
	v_max_f32_e32 v4, 0, v4
	v_cvt_pk_f16_f32 v4, v4, v5
	v_pk_add_f32 v[6:7], v[24:25], v[6:7]
	v_cmp_gt_i32_e64 s[2:3], s14, v56
	v_max_f32_e32 v5, 0, v7
	v_max_f32_e32 v6, 0, v6
	v_cvt_pk_f16_f32 v5, v6, v5
	v_cvt_f32_f16_e32 v6, v64
	v_cvt_f32_f16_sdwa v7, v64 dst_sel:DWORD dst_unused:UNUSED_PAD src0_sel:WORD_1
	s_and_b64 s[2:3], s[2:3], vcc
	v_subrev_u32_e32 v28, s13, v32
	v_cndmask_b32_e64 v24, v0, 0, s[2:3]
	v_lshl_add_u32 v24, v28, 1, v24
	buffer_store_dwordx2 v[4:5], v24, s[20:23], 0 offen
	v_pk_add_f32 v[4:5], v[22:23], v[6:7]
	v_cvt_f32_f16_e32 v6, v65
	v_cvt_f32_f16_sdwa v7, v65 dst_sel:DWORD dst_unused:UNUSED_PAD src0_sel:WORD_1
	v_max_f32_e32 v5, 0, v5
	v_max_f32_e32 v4, 0, v4
	v_cvt_pk_f16_f32 v4, v4, v5
	v_pk_add_f32 v[6:7], v[18:19], v[6:7]
	v_cmp_ge_i32_e64 s[2:3], s14, v56
	v_max_f32_e32 v5, 0, v7
	v_max_f32_e32 v6, 0, v6
	v_cvt_pk_f16_f32 v5, v6, v5
	v_cvt_f32_f16_e32 v6, v73
	v_cvt_f32_f16_sdwa v7, v73 dst_sel:DWORD dst_unused:UNUSED_PAD src0_sel:WORD_1
	s_and_b64 s[2:3], s[2:3], vcc
	v_subrev_u32_e32 v24, s12, v28
	v_cndmask_b32_e64 v18, v0, 0, s[2:3]
	v_lshl_add_u32 v18, v24, 1, v18
	buffer_store_dwordx2 v[4:5], v18, s[20:23], 0 offen
	v_pk_add_f32 v[4:5], v[20:21], v[6:7]
	v_cvt_f32_f16_e32 v6, v72
	v_cvt_f32_f16_sdwa v7, v72 dst_sel:DWORD dst_unused:UNUSED_PAD src0_sel:WORD_1
	v_max_f32_e32 v5, 0, v5
	v_max_f32_e32 v4, 0, v4
	v_cvt_pk_f16_f32 v4, v4, v5
	v_pk_add_f32 v[6:7], v[16:17], v[6:7]
	v_cmp_gt_i32_e64 s[2:3], s14, v79
	v_max_f32_e32 v5, 0, v7
	v_max_f32_e32 v6, 0, v6
	v_cvt_pk_f16_f32 v5, v6, v5
	v_cvt_f32_f16_e32 v6, v71
	v_cvt_f32_f16_sdwa v7, v71 dst_sel:DWORD dst_unused:UNUSED_PAD src0_sel:WORD_1
	s_and_b64 s[2:3], s[2:3], s[0:1]
	v_add_u32_e32 v18, s13, v24
	v_cndmask_b32_e64 v16, v0, 0, s[2:3]
	v_lshl_add_u32 v16, v18, 1, v16
	buffer_store_dwordx2 v[4:5], v16, s[20:23], 0 offen
	v_pk_add_f32 v[4:5], v[14:15], v[6:7]
	v_cvt_f32_f16_e32 v6, v70
	v_cvt_f32_f16_sdwa v7, v70 dst_sel:DWORD dst_unused:UNUSED_PAD src0_sel:WORD_1
	v_max_f32_e32 v5, 0, v5
	v_max_f32_e32 v4, 0, v4
	v_cvt_pk_f16_f32 v4, v4, v5
	v_pk_add_f32 v[6:7], v[12:13], v[6:7]
	v_cmp_ge_i32_e64 s[2:3], s14, v79
	v_max_f32_e32 v5, 0, v7
	v_max_f32_e32 v6, 0, v6
	v_cvt_pk_f16_f32 v5, v6, v5
	v_cvt_f32_f16_e32 v6, v3
	v_cvt_f32_f16_sdwa v7, v3 dst_sel:DWORD dst_unused:UNUSED_PAD src0_sel:WORD_1
	s_and_b64 s[0:1], s[2:3], s[0:1]
	v_subrev_u32_e32 v16, s12, v18
	v_cndmask_b32_e64 v12, v0, 0, s[0:1]
	v_lshl_add_u32 v3, v16, 1, v12
	buffer_store_dwordx2 v[4:5], v3, s[20:23], 0 offen
	v_pk_add_f32 v[4:5], v[10:11], v[6:7]
	v_cvt_f32_f16_e32 v6, v2
	v_cvt_f32_f16_sdwa v7, v2 dst_sel:DWORD dst_unused:UNUSED_PAD src0_sel:WORD_1
	v_cmp_gt_i32_e64 s[0:1], s14, v1
	v_max_f32_e32 v2, 0, v5
	v_max_f32_e32 v3, 0, v4
	v_pk_add_f32 v[4:5], v[8:9], v[6:7]
	s_and_b64 s[0:1], s[0:1], vcc
	v_subrev_u32_e32 v12, s13, v16
	v_cvt_pk_f16_f32 v2, v3, v2
	v_max_f32_e32 v3, 0, v5
	v_max_f32_e32 v4, 0, v4
	v_cndmask_b32_e64 v0, v0, 0, s[0:1]
	v_cvt_pk_f16_f32 v3, v4, v3
	v_lshl_add_u32 v0, v12, 1, v0
	buffer_store_dwordx2 v[2:3], v0, s[20:23], 0 offen
	s_endpgm
	.section	.rodata,"a",@progbits
	.p2align	6, 0x0
	.amdhsa_kernel _ZN2ck16tensor_operation6device12_GLOBAL__N_137kernel_grouped_conv_fwd_dl_multiple_dINS_32GridwiseGemmDlMultipleD_km_kn_mnILi256EDF16_fNS_5TupleIJDF16_EEEDF16_NS0_12element_wise11PassThroughES8_NS7_7AddReluELNS_25InMemoryDataOperationEnumE0ENS_16TensorDescriptorINS5_IJNS_5EmbedINS5_IJiiiiEEESD_Lb0EEENS_11PassThroughIiEENS_3PadIiiiLb0EEESI_SG_SG_NSC_INS5_IJiiEEESJ_Lb0EEESK_SG_NS_23Merge_v2_magic_divisionINS5_IJiiiEEEEESN_NS_8RightPadIiiLb0EEESP_NS_7UnMergeISJ_Lb0EEESG_EEENS5_IJNS_8SequenceIJLi0EEEENST_IJLi1EEEENST_IJLi2EEEENST_IJLi3EEEENST_IJLi4EEEENST_IJLi5EEEENST_IJLi6EEEENST_IJLi7EEEENST_IJLi8EEEENST_IJLi9ELi11ELi13EEEENST_IJLi10ELi12ELi14EEEENST_IJLi15EEEENST_IJLi16EEEENST_IJLi18EEEENST_IJLi17EEEEEEENS5_IJNST_IJLi1ELi2ELi3ELi4EEEESZ_S10_S11_S12_NST_IJLi9EEEENST_IJLi10ELi11EEEENST_IJLi12ELi13EEEENST_IJLi14EEEES15_S16_S18_S17_NST_IJLi19ELi20EEEENST_IJLi21EEEEEEENST_IJLi19ELi21ELi20EEEElEENSB_INS5_IJSR_SP_SP_SR_SG_EEENS5_IJSU_SV_SW_SY_SX_EEENS5_IJNST_IJLi1ELi2EEEESX_SY_NST_IJLi5ELi6EEEES11_EEENST_IJLi5ELi7ELi6EEEElEENSB_INS5_IJSK_SP_SP_EEENS5_IJSU_SV_SW_EEENS5_IJS1M_SX_SY_EEENST_IJLi3ELi4EEEElEELi128ELi128ELi16ELi2ELi4ELi4ELi1ENST_IJLi8ELi2EEEES1W_NST_IJLi8ELi1ELi1ELi2EEEENST_IJLi2ELi1ELi128ELi1EEEENST_IJLi1ELi2ELi0ELi3EEEES1Z_NST_IJLi4ELi1ELi1ELi2EEEES1Z_NST_IJLi1ELi1ELi1ELi2EEEES1X_S1Y_S1Z_S1Z_S20_S1Z_S21_NST_IJLi0ELi1ELi2ELi3ELi4ELi5EEEELi5ELi4EEEDF16_NS5_IJPKDF16_EEEDF16_S8_S8_S9_NSB_INS5_IJSE_SG_SI_SI_SG_SG_SK_SK_SG_SN_SN_SP_SP_SR_SG_SG_NSQ_INS5_IJiNS_17integral_constantIiLi128EEEEEELb0EEENSF_INS27_IiLi2EEEEEEEENS5_IJSU_SV_SW_SX_SY_SZ_S10_S11_S12_S13_S14_S15_S16_S17_S18_NST_IJLi19EEEES1G_NST_IJLi20EEEEEEENS5_IJS1A_SZ_S10_S11_S12_S1B_S1C_S1D_S1E_S15_S16_S18_S17_S1F_S1G_NST_IJLi22EEEENST_IJLi23ELi24EEEENST_IJLi25EEEEEEENST_IJLi22ELi23ELi24ELi25EEEElEENSB_INS5_IJSR_SP_SP_SR_SG_SG_S2A_S2C_EEENS5_IJSU_SV_SW_SY_SX_SZ_S11_S10_EEENS5_IJS1M_SX_SY_S1N_S11_S12_NST_IJLi9ELi10EEEENST_IJLi11EEEEEEENST_IJLi8ELi9ELi10ELi11EEEElEENS5_IJNSB_INS5_IJSK_SP_SP_NSQ_INS5_IJiS2B_NS27_IiLi64EEEEEELb0EEES2W_EEENS5_IJSU_SV_SW_SX_SY_EEENS5_IJS1M_SX_SY_NST_IJLi5ELi6ELi7EEEENST_IJLi8ELi9ELi10EEEEEEENST_IJLi5ELi6ELi7ELi8ELi9ELi10EEEElEEEEES33_NS_31BlockToCTileMap_M00_N00_M01_N01ILi128ELi128ES1V_Lb0EEENS1_30ComputePtrOffsetOfStridedBatchILi1ELi1ELi1EvEELb0ELb1EEEvPKT0_S3B_T1_PT2_T3_T4_T5_iT6_T7_T8_T9_T10_T11_
		.amdhsa_group_segment_fixed_size 32768
		.amdhsa_private_segment_fixed_size 0
		.amdhsa_kernarg_size 968
		.amdhsa_user_sgpr_count 2
		.amdhsa_user_sgpr_dispatch_ptr 0
		.amdhsa_user_sgpr_queue_ptr 0
		.amdhsa_user_sgpr_kernarg_segment_ptr 1
		.amdhsa_user_sgpr_dispatch_id 0
		.amdhsa_user_sgpr_kernarg_preload_length 0
		.amdhsa_user_sgpr_kernarg_preload_offset 0
		.amdhsa_user_sgpr_private_segment_size 0
		.amdhsa_uses_dynamic_stack 0
		.amdhsa_enable_private_segment 0
		.amdhsa_system_sgpr_workgroup_id_x 1
		.amdhsa_system_sgpr_workgroup_id_y 0
		.amdhsa_system_sgpr_workgroup_id_z 0
		.amdhsa_system_sgpr_workgroup_info 0
		.amdhsa_system_vgpr_workitem_id 0
		.amdhsa_next_free_vgpr 95
		.amdhsa_next_free_sgpr 96
		.amdhsa_accum_offset 96
		.amdhsa_reserve_vcc 1
		.amdhsa_float_round_mode_32 0
		.amdhsa_float_round_mode_16_64 0
		.amdhsa_float_denorm_mode_32 3
		.amdhsa_float_denorm_mode_16_64 3
		.amdhsa_dx10_clamp 1
		.amdhsa_ieee_mode 1
		.amdhsa_fp16_overflow 0
		.amdhsa_tg_split 0
		.amdhsa_exception_fp_ieee_invalid_op 0
		.amdhsa_exception_fp_denorm_src 0
		.amdhsa_exception_fp_ieee_div_zero 0
		.amdhsa_exception_fp_ieee_overflow 0
		.amdhsa_exception_fp_ieee_underflow 0
		.amdhsa_exception_fp_ieee_inexact 0
		.amdhsa_exception_int_div_zero 0
	.end_amdhsa_kernel
	.section	.text._ZN2ck16tensor_operation6device12_GLOBAL__N_137kernel_grouped_conv_fwd_dl_multiple_dINS_32GridwiseGemmDlMultipleD_km_kn_mnILi256EDF16_fNS_5TupleIJDF16_EEEDF16_NS0_12element_wise11PassThroughES8_NS7_7AddReluELNS_25InMemoryDataOperationEnumE0ENS_16TensorDescriptorINS5_IJNS_5EmbedINS5_IJiiiiEEESD_Lb0EEENS_11PassThroughIiEENS_3PadIiiiLb0EEESI_SG_SG_NSC_INS5_IJiiEEESJ_Lb0EEESK_SG_NS_23Merge_v2_magic_divisionINS5_IJiiiEEEEESN_NS_8RightPadIiiLb0EEESP_NS_7UnMergeISJ_Lb0EEESG_EEENS5_IJNS_8SequenceIJLi0EEEENST_IJLi1EEEENST_IJLi2EEEENST_IJLi3EEEENST_IJLi4EEEENST_IJLi5EEEENST_IJLi6EEEENST_IJLi7EEEENST_IJLi8EEEENST_IJLi9ELi11ELi13EEEENST_IJLi10ELi12ELi14EEEENST_IJLi15EEEENST_IJLi16EEEENST_IJLi18EEEENST_IJLi17EEEEEEENS5_IJNST_IJLi1ELi2ELi3ELi4EEEESZ_S10_S11_S12_NST_IJLi9EEEENST_IJLi10ELi11EEEENST_IJLi12ELi13EEEENST_IJLi14EEEES15_S16_S18_S17_NST_IJLi19ELi20EEEENST_IJLi21EEEEEEENST_IJLi19ELi21ELi20EEEElEENSB_INS5_IJSR_SP_SP_SR_SG_EEENS5_IJSU_SV_SW_SY_SX_EEENS5_IJNST_IJLi1ELi2EEEESX_SY_NST_IJLi5ELi6EEEES11_EEENST_IJLi5ELi7ELi6EEEElEENSB_INS5_IJSK_SP_SP_EEENS5_IJSU_SV_SW_EEENS5_IJS1M_SX_SY_EEENST_IJLi3ELi4EEEElEELi128ELi128ELi16ELi2ELi4ELi4ELi1ENST_IJLi8ELi2EEEES1W_NST_IJLi8ELi1ELi1ELi2EEEENST_IJLi2ELi1ELi128ELi1EEEENST_IJLi1ELi2ELi0ELi3EEEES1Z_NST_IJLi4ELi1ELi1ELi2EEEES1Z_NST_IJLi1ELi1ELi1ELi2EEEES1X_S1Y_S1Z_S1Z_S20_S1Z_S21_NST_IJLi0ELi1ELi2ELi3ELi4ELi5EEEELi5ELi4EEEDF16_NS5_IJPKDF16_EEEDF16_S8_S8_S9_NSB_INS5_IJSE_SG_SI_SI_SG_SG_SK_SK_SG_SN_SN_SP_SP_SR_SG_SG_NSQ_INS5_IJiNS_17integral_constantIiLi128EEEEEELb0EEENSF_INS27_IiLi2EEEEEEEENS5_IJSU_SV_SW_SX_SY_SZ_S10_S11_S12_S13_S14_S15_S16_S17_S18_NST_IJLi19EEEES1G_NST_IJLi20EEEEEEENS5_IJS1A_SZ_S10_S11_S12_S1B_S1C_S1D_S1E_S15_S16_S18_S17_S1F_S1G_NST_IJLi22EEEENST_IJLi23ELi24EEEENST_IJLi25EEEEEEENST_IJLi22ELi23ELi24ELi25EEEElEENSB_INS5_IJSR_SP_SP_SR_SG_SG_S2A_S2C_EEENS5_IJSU_SV_SW_SY_SX_SZ_S11_S10_EEENS5_IJS1M_SX_SY_S1N_S11_S12_NST_IJLi9ELi10EEEENST_IJLi11EEEEEEENST_IJLi8ELi9ELi10ELi11EEEElEENS5_IJNSB_INS5_IJSK_SP_SP_NSQ_INS5_IJiS2B_NS27_IiLi64EEEEEELb0EEES2W_EEENS5_IJSU_SV_SW_SX_SY_EEENS5_IJS1M_SX_SY_NST_IJLi5ELi6ELi7EEEENST_IJLi8ELi9ELi10EEEEEEENST_IJLi5ELi6ELi7ELi8ELi9ELi10EEEElEEEEES33_NS_31BlockToCTileMap_M00_N00_M01_N01ILi128ELi128ES1V_Lb0EEENS1_30ComputePtrOffsetOfStridedBatchILi1ELi1ELi1EvEELb0ELb1EEEvPKT0_S3B_T1_PT2_T3_T4_T5_iT6_T7_T8_T9_T10_T11_,"axG",@progbits,_ZN2ck16tensor_operation6device12_GLOBAL__N_137kernel_grouped_conv_fwd_dl_multiple_dINS_32GridwiseGemmDlMultipleD_km_kn_mnILi256EDF16_fNS_5TupleIJDF16_EEEDF16_NS0_12element_wise11PassThroughES8_NS7_7AddReluELNS_25InMemoryDataOperationEnumE0ENS_16TensorDescriptorINS5_IJNS_5EmbedINS5_IJiiiiEEESD_Lb0EEENS_11PassThroughIiEENS_3PadIiiiLb0EEESI_SG_SG_NSC_INS5_IJiiEEESJ_Lb0EEESK_SG_NS_23Merge_v2_magic_divisionINS5_IJiiiEEEEESN_NS_8RightPadIiiLb0EEESP_NS_7UnMergeISJ_Lb0EEESG_EEENS5_IJNS_8SequenceIJLi0EEEENST_IJLi1EEEENST_IJLi2EEEENST_IJLi3EEEENST_IJLi4EEEENST_IJLi5EEEENST_IJLi6EEEENST_IJLi7EEEENST_IJLi8EEEENST_IJLi9ELi11ELi13EEEENST_IJLi10ELi12ELi14EEEENST_IJLi15EEEENST_IJLi16EEEENST_IJLi18EEEENST_IJLi17EEEEEEENS5_IJNST_IJLi1ELi2ELi3ELi4EEEESZ_S10_S11_S12_NST_IJLi9EEEENST_IJLi10ELi11EEEENST_IJLi12ELi13EEEENST_IJLi14EEEES15_S16_S18_S17_NST_IJLi19ELi20EEEENST_IJLi21EEEEEEENST_IJLi19ELi21ELi20EEEElEENSB_INS5_IJSR_SP_SP_SR_SG_EEENS5_IJSU_SV_SW_SY_SX_EEENS5_IJNST_IJLi1ELi2EEEESX_SY_NST_IJLi5ELi6EEEES11_EEENST_IJLi5ELi7ELi6EEEElEENSB_INS5_IJSK_SP_SP_EEENS5_IJSU_SV_SW_EEENS5_IJS1M_SX_SY_EEENST_IJLi3ELi4EEEElEELi128ELi128ELi16ELi2ELi4ELi4ELi1ENST_IJLi8ELi2EEEES1W_NST_IJLi8ELi1ELi1ELi2EEEENST_IJLi2ELi1ELi128ELi1EEEENST_IJLi1ELi2ELi0ELi3EEEES1Z_NST_IJLi4ELi1ELi1ELi2EEEES1Z_NST_IJLi1ELi1ELi1ELi2EEEES1X_S1Y_S1Z_S1Z_S20_S1Z_S21_NST_IJLi0ELi1ELi2ELi3ELi4ELi5EEEELi5ELi4EEEDF16_NS5_IJPKDF16_EEEDF16_S8_S8_S9_NSB_INS5_IJSE_SG_SI_SI_SG_SG_SK_SK_SG_SN_SN_SP_SP_SR_SG_SG_NSQ_INS5_IJiNS_17integral_constantIiLi128EEEEEELb0EEENSF_INS27_IiLi2EEEEEEEENS5_IJSU_SV_SW_SX_SY_SZ_S10_S11_S12_S13_S14_S15_S16_S17_S18_NST_IJLi19EEEES1G_NST_IJLi20EEEEEEENS5_IJS1A_SZ_S10_S11_S12_S1B_S1C_S1D_S1E_S15_S16_S18_S17_S1F_S1G_NST_IJLi22EEEENST_IJLi23ELi24EEEENST_IJLi25EEEEEEENST_IJLi22ELi23ELi24ELi25EEEElEENSB_INS5_IJSR_SP_SP_SR_SG_SG_S2A_S2C_EEENS5_IJSU_SV_SW_SY_SX_SZ_S11_S10_EEENS5_IJS1M_SX_SY_S1N_S11_S12_NST_IJLi9ELi10EEEENST_IJLi11EEEEEEENST_IJLi8ELi9ELi10ELi11EEEElEENS5_IJNSB_INS5_IJSK_SP_SP_NSQ_INS5_IJiS2B_NS27_IiLi64EEEEEELb0EEES2W_EEENS5_IJSU_SV_SW_SX_SY_EEENS5_IJS1M_SX_SY_NST_IJLi5ELi6ELi7EEEENST_IJLi8ELi9ELi10EEEEEEENST_IJLi5ELi6ELi7ELi8ELi9ELi10EEEElEEEEES33_NS_31BlockToCTileMap_M00_N00_M01_N01ILi128ELi128ES1V_Lb0EEENS1_30ComputePtrOffsetOfStridedBatchILi1ELi1ELi1EvEELb0ELb1EEEvPKT0_S3B_T1_PT2_T3_T4_T5_iT6_T7_T8_T9_T10_T11_,comdat
.Lfunc_end7:
	.size	_ZN2ck16tensor_operation6device12_GLOBAL__N_137kernel_grouped_conv_fwd_dl_multiple_dINS_32GridwiseGemmDlMultipleD_km_kn_mnILi256EDF16_fNS_5TupleIJDF16_EEEDF16_NS0_12element_wise11PassThroughES8_NS7_7AddReluELNS_25InMemoryDataOperationEnumE0ENS_16TensorDescriptorINS5_IJNS_5EmbedINS5_IJiiiiEEESD_Lb0EEENS_11PassThroughIiEENS_3PadIiiiLb0EEESI_SG_SG_NSC_INS5_IJiiEEESJ_Lb0EEESK_SG_NS_23Merge_v2_magic_divisionINS5_IJiiiEEEEESN_NS_8RightPadIiiLb0EEESP_NS_7UnMergeISJ_Lb0EEESG_EEENS5_IJNS_8SequenceIJLi0EEEENST_IJLi1EEEENST_IJLi2EEEENST_IJLi3EEEENST_IJLi4EEEENST_IJLi5EEEENST_IJLi6EEEENST_IJLi7EEEENST_IJLi8EEEENST_IJLi9ELi11ELi13EEEENST_IJLi10ELi12ELi14EEEENST_IJLi15EEEENST_IJLi16EEEENST_IJLi18EEEENST_IJLi17EEEEEEENS5_IJNST_IJLi1ELi2ELi3ELi4EEEESZ_S10_S11_S12_NST_IJLi9EEEENST_IJLi10ELi11EEEENST_IJLi12ELi13EEEENST_IJLi14EEEES15_S16_S18_S17_NST_IJLi19ELi20EEEENST_IJLi21EEEEEEENST_IJLi19ELi21ELi20EEEElEENSB_INS5_IJSR_SP_SP_SR_SG_EEENS5_IJSU_SV_SW_SY_SX_EEENS5_IJNST_IJLi1ELi2EEEESX_SY_NST_IJLi5ELi6EEEES11_EEENST_IJLi5ELi7ELi6EEEElEENSB_INS5_IJSK_SP_SP_EEENS5_IJSU_SV_SW_EEENS5_IJS1M_SX_SY_EEENST_IJLi3ELi4EEEElEELi128ELi128ELi16ELi2ELi4ELi4ELi1ENST_IJLi8ELi2EEEES1W_NST_IJLi8ELi1ELi1ELi2EEEENST_IJLi2ELi1ELi128ELi1EEEENST_IJLi1ELi2ELi0ELi3EEEES1Z_NST_IJLi4ELi1ELi1ELi2EEEES1Z_NST_IJLi1ELi1ELi1ELi2EEEES1X_S1Y_S1Z_S1Z_S20_S1Z_S21_NST_IJLi0ELi1ELi2ELi3ELi4ELi5EEEELi5ELi4EEEDF16_NS5_IJPKDF16_EEEDF16_S8_S8_S9_NSB_INS5_IJSE_SG_SI_SI_SG_SG_SK_SK_SG_SN_SN_SP_SP_SR_SG_SG_NSQ_INS5_IJiNS_17integral_constantIiLi128EEEEEELb0EEENSF_INS27_IiLi2EEEEEEEENS5_IJSU_SV_SW_SX_SY_SZ_S10_S11_S12_S13_S14_S15_S16_S17_S18_NST_IJLi19EEEES1G_NST_IJLi20EEEEEEENS5_IJS1A_SZ_S10_S11_S12_S1B_S1C_S1D_S1E_S15_S16_S18_S17_S1F_S1G_NST_IJLi22EEEENST_IJLi23ELi24EEEENST_IJLi25EEEEEEENST_IJLi22ELi23ELi24ELi25EEEElEENSB_INS5_IJSR_SP_SP_SR_SG_SG_S2A_S2C_EEENS5_IJSU_SV_SW_SY_SX_SZ_S11_S10_EEENS5_IJS1M_SX_SY_S1N_S11_S12_NST_IJLi9ELi10EEEENST_IJLi11EEEEEEENST_IJLi8ELi9ELi10ELi11EEEElEENS5_IJNSB_INS5_IJSK_SP_SP_NSQ_INS5_IJiS2B_NS27_IiLi64EEEEEELb0EEES2W_EEENS5_IJSU_SV_SW_SX_SY_EEENS5_IJS1M_SX_SY_NST_IJLi5ELi6ELi7EEEENST_IJLi8ELi9ELi10EEEEEEENST_IJLi5ELi6ELi7ELi8ELi9ELi10EEEElEEEEES33_NS_31BlockToCTileMap_M00_N00_M01_N01ILi128ELi128ES1V_Lb0EEENS1_30ComputePtrOffsetOfStridedBatchILi1ELi1ELi1EvEELb0ELb1EEEvPKT0_S3B_T1_PT2_T3_T4_T5_iT6_T7_T8_T9_T10_T11_, .Lfunc_end7-_ZN2ck16tensor_operation6device12_GLOBAL__N_137kernel_grouped_conv_fwd_dl_multiple_dINS_32GridwiseGemmDlMultipleD_km_kn_mnILi256EDF16_fNS_5TupleIJDF16_EEEDF16_NS0_12element_wise11PassThroughES8_NS7_7AddReluELNS_25InMemoryDataOperationEnumE0ENS_16TensorDescriptorINS5_IJNS_5EmbedINS5_IJiiiiEEESD_Lb0EEENS_11PassThroughIiEENS_3PadIiiiLb0EEESI_SG_SG_NSC_INS5_IJiiEEESJ_Lb0EEESK_SG_NS_23Merge_v2_magic_divisionINS5_IJiiiEEEEESN_NS_8RightPadIiiLb0EEESP_NS_7UnMergeISJ_Lb0EEESG_EEENS5_IJNS_8SequenceIJLi0EEEENST_IJLi1EEEENST_IJLi2EEEENST_IJLi3EEEENST_IJLi4EEEENST_IJLi5EEEENST_IJLi6EEEENST_IJLi7EEEENST_IJLi8EEEENST_IJLi9ELi11ELi13EEEENST_IJLi10ELi12ELi14EEEENST_IJLi15EEEENST_IJLi16EEEENST_IJLi18EEEENST_IJLi17EEEEEEENS5_IJNST_IJLi1ELi2ELi3ELi4EEEESZ_S10_S11_S12_NST_IJLi9EEEENST_IJLi10ELi11EEEENST_IJLi12ELi13EEEENST_IJLi14EEEES15_S16_S18_S17_NST_IJLi19ELi20EEEENST_IJLi21EEEEEEENST_IJLi19ELi21ELi20EEEElEENSB_INS5_IJSR_SP_SP_SR_SG_EEENS5_IJSU_SV_SW_SY_SX_EEENS5_IJNST_IJLi1ELi2EEEESX_SY_NST_IJLi5ELi6EEEES11_EEENST_IJLi5ELi7ELi6EEEElEENSB_INS5_IJSK_SP_SP_EEENS5_IJSU_SV_SW_EEENS5_IJS1M_SX_SY_EEENST_IJLi3ELi4EEEElEELi128ELi128ELi16ELi2ELi4ELi4ELi1ENST_IJLi8ELi2EEEES1W_NST_IJLi8ELi1ELi1ELi2EEEENST_IJLi2ELi1ELi128ELi1EEEENST_IJLi1ELi2ELi0ELi3EEEES1Z_NST_IJLi4ELi1ELi1ELi2EEEES1Z_NST_IJLi1ELi1ELi1ELi2EEEES1X_S1Y_S1Z_S1Z_S20_S1Z_S21_NST_IJLi0ELi1ELi2ELi3ELi4ELi5EEEELi5ELi4EEEDF16_NS5_IJPKDF16_EEEDF16_S8_S8_S9_NSB_INS5_IJSE_SG_SI_SI_SG_SG_SK_SK_SG_SN_SN_SP_SP_SR_SG_SG_NSQ_INS5_IJiNS_17integral_constantIiLi128EEEEEELb0EEENSF_INS27_IiLi2EEEEEEEENS5_IJSU_SV_SW_SX_SY_SZ_S10_S11_S12_S13_S14_S15_S16_S17_S18_NST_IJLi19EEEES1G_NST_IJLi20EEEEEEENS5_IJS1A_SZ_S10_S11_S12_S1B_S1C_S1D_S1E_S15_S16_S18_S17_S1F_S1G_NST_IJLi22EEEENST_IJLi23ELi24EEEENST_IJLi25EEEEEEENST_IJLi22ELi23ELi24ELi25EEEElEENSB_INS5_IJSR_SP_SP_SR_SG_SG_S2A_S2C_EEENS5_IJSU_SV_SW_SY_SX_SZ_S11_S10_EEENS5_IJS1M_SX_SY_S1N_S11_S12_NST_IJLi9ELi10EEEENST_IJLi11EEEEEEENST_IJLi8ELi9ELi10ELi11EEEElEENS5_IJNSB_INS5_IJSK_SP_SP_NSQ_INS5_IJiS2B_NS27_IiLi64EEEEEELb0EEES2W_EEENS5_IJSU_SV_SW_SX_SY_EEENS5_IJS1M_SX_SY_NST_IJLi5ELi6ELi7EEEENST_IJLi8ELi9ELi10EEEEEEENST_IJLi5ELi6ELi7ELi8ELi9ELi10EEEElEEEEES33_NS_31BlockToCTileMap_M00_N00_M01_N01ILi128ELi128ES1V_Lb0EEENS1_30ComputePtrOffsetOfStridedBatchILi1ELi1ELi1EvEELb0ELb1EEEvPKT0_S3B_T1_PT2_T3_T4_T5_iT6_T7_T8_T9_T10_T11_
                                        ; -- End function
	.set _ZN2ck16tensor_operation6device12_GLOBAL__N_137kernel_grouped_conv_fwd_dl_multiple_dINS_32GridwiseGemmDlMultipleD_km_kn_mnILi256EDF16_fNS_5TupleIJDF16_EEEDF16_NS0_12element_wise11PassThroughES8_NS7_7AddReluELNS_25InMemoryDataOperationEnumE0ENS_16TensorDescriptorINS5_IJNS_5EmbedINS5_IJiiiiEEESD_Lb0EEENS_11PassThroughIiEENS_3PadIiiiLb0EEESI_SG_SG_NSC_INS5_IJiiEEESJ_Lb0EEESK_SG_NS_23Merge_v2_magic_divisionINS5_IJiiiEEEEESN_NS_8RightPadIiiLb0EEESP_NS_7UnMergeISJ_Lb0EEESG_EEENS5_IJNS_8SequenceIJLi0EEEENST_IJLi1EEEENST_IJLi2EEEENST_IJLi3EEEENST_IJLi4EEEENST_IJLi5EEEENST_IJLi6EEEENST_IJLi7EEEENST_IJLi8EEEENST_IJLi9ELi11ELi13EEEENST_IJLi10ELi12ELi14EEEENST_IJLi15EEEENST_IJLi16EEEENST_IJLi18EEEENST_IJLi17EEEEEEENS5_IJNST_IJLi1ELi2ELi3ELi4EEEESZ_S10_S11_S12_NST_IJLi9EEEENST_IJLi10ELi11EEEENST_IJLi12ELi13EEEENST_IJLi14EEEES15_S16_S18_S17_NST_IJLi19ELi20EEEENST_IJLi21EEEEEEENST_IJLi19ELi21ELi20EEEElEENSB_INS5_IJSR_SP_SP_SR_SG_EEENS5_IJSU_SV_SW_SY_SX_EEENS5_IJNST_IJLi1ELi2EEEESX_SY_NST_IJLi5ELi6EEEES11_EEENST_IJLi5ELi7ELi6EEEElEENSB_INS5_IJSK_SP_SP_EEENS5_IJSU_SV_SW_EEENS5_IJS1M_SX_SY_EEENST_IJLi3ELi4EEEElEELi128ELi128ELi16ELi2ELi4ELi4ELi1ENST_IJLi8ELi2EEEES1W_NST_IJLi8ELi1ELi1ELi2EEEENST_IJLi2ELi1ELi128ELi1EEEENST_IJLi1ELi2ELi0ELi3EEEES1Z_NST_IJLi4ELi1ELi1ELi2EEEES1Z_NST_IJLi1ELi1ELi1ELi2EEEES1X_S1Y_S1Z_S1Z_S20_S1Z_S21_NST_IJLi0ELi1ELi2ELi3ELi4ELi5EEEELi5ELi4EEEDF16_NS5_IJPKDF16_EEEDF16_S8_S8_S9_NSB_INS5_IJSE_SG_SI_SI_SG_SG_SK_SK_SG_SN_SN_SP_SP_SR_SG_SG_NSQ_INS5_IJiNS_17integral_constantIiLi128EEEEEELb0EEENSF_INS27_IiLi2EEEEEEEENS5_IJSU_SV_SW_SX_SY_SZ_S10_S11_S12_S13_S14_S15_S16_S17_S18_NST_IJLi19EEEES1G_NST_IJLi20EEEEEEENS5_IJS1A_SZ_S10_S11_S12_S1B_S1C_S1D_S1E_S15_S16_S18_S17_S1F_S1G_NST_IJLi22EEEENST_IJLi23ELi24EEEENST_IJLi25EEEEEEENST_IJLi22ELi23ELi24ELi25EEEElEENSB_INS5_IJSR_SP_SP_SR_SG_SG_S2A_S2C_EEENS5_IJSU_SV_SW_SY_SX_SZ_S11_S10_EEENS5_IJS1M_SX_SY_S1N_S11_S12_NST_IJLi9ELi10EEEENST_IJLi11EEEEEEENST_IJLi8ELi9ELi10ELi11EEEElEENS5_IJNSB_INS5_IJSK_SP_SP_NSQ_INS5_IJiS2B_NS27_IiLi64EEEEEELb0EEES2W_EEENS5_IJSU_SV_SW_SX_SY_EEENS5_IJS1M_SX_SY_NST_IJLi5ELi6ELi7EEEENST_IJLi8ELi9ELi10EEEEEEENST_IJLi5ELi6ELi7ELi8ELi9ELi10EEEElEEEEES33_NS_31BlockToCTileMap_M00_N00_M01_N01ILi128ELi128ES1V_Lb0EEENS1_30ComputePtrOffsetOfStridedBatchILi1ELi1ELi1EvEELb0ELb1EEEvPKT0_S3B_T1_PT2_T3_T4_T5_iT6_T7_T8_T9_T10_T11_.num_vgpr, 95
	.set _ZN2ck16tensor_operation6device12_GLOBAL__N_137kernel_grouped_conv_fwd_dl_multiple_dINS_32GridwiseGemmDlMultipleD_km_kn_mnILi256EDF16_fNS_5TupleIJDF16_EEEDF16_NS0_12element_wise11PassThroughES8_NS7_7AddReluELNS_25InMemoryDataOperationEnumE0ENS_16TensorDescriptorINS5_IJNS_5EmbedINS5_IJiiiiEEESD_Lb0EEENS_11PassThroughIiEENS_3PadIiiiLb0EEESI_SG_SG_NSC_INS5_IJiiEEESJ_Lb0EEESK_SG_NS_23Merge_v2_magic_divisionINS5_IJiiiEEEEESN_NS_8RightPadIiiLb0EEESP_NS_7UnMergeISJ_Lb0EEESG_EEENS5_IJNS_8SequenceIJLi0EEEENST_IJLi1EEEENST_IJLi2EEEENST_IJLi3EEEENST_IJLi4EEEENST_IJLi5EEEENST_IJLi6EEEENST_IJLi7EEEENST_IJLi8EEEENST_IJLi9ELi11ELi13EEEENST_IJLi10ELi12ELi14EEEENST_IJLi15EEEENST_IJLi16EEEENST_IJLi18EEEENST_IJLi17EEEEEEENS5_IJNST_IJLi1ELi2ELi3ELi4EEEESZ_S10_S11_S12_NST_IJLi9EEEENST_IJLi10ELi11EEEENST_IJLi12ELi13EEEENST_IJLi14EEEES15_S16_S18_S17_NST_IJLi19ELi20EEEENST_IJLi21EEEEEEENST_IJLi19ELi21ELi20EEEElEENSB_INS5_IJSR_SP_SP_SR_SG_EEENS5_IJSU_SV_SW_SY_SX_EEENS5_IJNST_IJLi1ELi2EEEESX_SY_NST_IJLi5ELi6EEEES11_EEENST_IJLi5ELi7ELi6EEEElEENSB_INS5_IJSK_SP_SP_EEENS5_IJSU_SV_SW_EEENS5_IJS1M_SX_SY_EEENST_IJLi3ELi4EEEElEELi128ELi128ELi16ELi2ELi4ELi4ELi1ENST_IJLi8ELi2EEEES1W_NST_IJLi8ELi1ELi1ELi2EEEENST_IJLi2ELi1ELi128ELi1EEEENST_IJLi1ELi2ELi0ELi3EEEES1Z_NST_IJLi4ELi1ELi1ELi2EEEES1Z_NST_IJLi1ELi1ELi1ELi2EEEES1X_S1Y_S1Z_S1Z_S20_S1Z_S21_NST_IJLi0ELi1ELi2ELi3ELi4ELi5EEEELi5ELi4EEEDF16_NS5_IJPKDF16_EEEDF16_S8_S8_S9_NSB_INS5_IJSE_SG_SI_SI_SG_SG_SK_SK_SG_SN_SN_SP_SP_SR_SG_SG_NSQ_INS5_IJiNS_17integral_constantIiLi128EEEEEELb0EEENSF_INS27_IiLi2EEEEEEEENS5_IJSU_SV_SW_SX_SY_SZ_S10_S11_S12_S13_S14_S15_S16_S17_S18_NST_IJLi19EEEES1G_NST_IJLi20EEEEEEENS5_IJS1A_SZ_S10_S11_S12_S1B_S1C_S1D_S1E_S15_S16_S18_S17_S1F_S1G_NST_IJLi22EEEENST_IJLi23ELi24EEEENST_IJLi25EEEEEEENST_IJLi22ELi23ELi24ELi25EEEElEENSB_INS5_IJSR_SP_SP_SR_SG_SG_S2A_S2C_EEENS5_IJSU_SV_SW_SY_SX_SZ_S11_S10_EEENS5_IJS1M_SX_SY_S1N_S11_S12_NST_IJLi9ELi10EEEENST_IJLi11EEEEEEENST_IJLi8ELi9ELi10ELi11EEEElEENS5_IJNSB_INS5_IJSK_SP_SP_NSQ_INS5_IJiS2B_NS27_IiLi64EEEEEELb0EEES2W_EEENS5_IJSU_SV_SW_SX_SY_EEENS5_IJS1M_SX_SY_NST_IJLi5ELi6ELi7EEEENST_IJLi8ELi9ELi10EEEEEEENST_IJLi5ELi6ELi7ELi8ELi9ELi10EEEElEEEEES33_NS_31BlockToCTileMap_M00_N00_M01_N01ILi128ELi128ES1V_Lb0EEENS1_30ComputePtrOffsetOfStridedBatchILi1ELi1ELi1EvEELb0ELb1EEEvPKT0_S3B_T1_PT2_T3_T4_T5_iT6_T7_T8_T9_T10_T11_.num_agpr, 0
	.set _ZN2ck16tensor_operation6device12_GLOBAL__N_137kernel_grouped_conv_fwd_dl_multiple_dINS_32GridwiseGemmDlMultipleD_km_kn_mnILi256EDF16_fNS_5TupleIJDF16_EEEDF16_NS0_12element_wise11PassThroughES8_NS7_7AddReluELNS_25InMemoryDataOperationEnumE0ENS_16TensorDescriptorINS5_IJNS_5EmbedINS5_IJiiiiEEESD_Lb0EEENS_11PassThroughIiEENS_3PadIiiiLb0EEESI_SG_SG_NSC_INS5_IJiiEEESJ_Lb0EEESK_SG_NS_23Merge_v2_magic_divisionINS5_IJiiiEEEEESN_NS_8RightPadIiiLb0EEESP_NS_7UnMergeISJ_Lb0EEESG_EEENS5_IJNS_8SequenceIJLi0EEEENST_IJLi1EEEENST_IJLi2EEEENST_IJLi3EEEENST_IJLi4EEEENST_IJLi5EEEENST_IJLi6EEEENST_IJLi7EEEENST_IJLi8EEEENST_IJLi9ELi11ELi13EEEENST_IJLi10ELi12ELi14EEEENST_IJLi15EEEENST_IJLi16EEEENST_IJLi18EEEENST_IJLi17EEEEEEENS5_IJNST_IJLi1ELi2ELi3ELi4EEEESZ_S10_S11_S12_NST_IJLi9EEEENST_IJLi10ELi11EEEENST_IJLi12ELi13EEEENST_IJLi14EEEES15_S16_S18_S17_NST_IJLi19ELi20EEEENST_IJLi21EEEEEEENST_IJLi19ELi21ELi20EEEElEENSB_INS5_IJSR_SP_SP_SR_SG_EEENS5_IJSU_SV_SW_SY_SX_EEENS5_IJNST_IJLi1ELi2EEEESX_SY_NST_IJLi5ELi6EEEES11_EEENST_IJLi5ELi7ELi6EEEElEENSB_INS5_IJSK_SP_SP_EEENS5_IJSU_SV_SW_EEENS5_IJS1M_SX_SY_EEENST_IJLi3ELi4EEEElEELi128ELi128ELi16ELi2ELi4ELi4ELi1ENST_IJLi8ELi2EEEES1W_NST_IJLi8ELi1ELi1ELi2EEEENST_IJLi2ELi1ELi128ELi1EEEENST_IJLi1ELi2ELi0ELi3EEEES1Z_NST_IJLi4ELi1ELi1ELi2EEEES1Z_NST_IJLi1ELi1ELi1ELi2EEEES1X_S1Y_S1Z_S1Z_S20_S1Z_S21_NST_IJLi0ELi1ELi2ELi3ELi4ELi5EEEELi5ELi4EEEDF16_NS5_IJPKDF16_EEEDF16_S8_S8_S9_NSB_INS5_IJSE_SG_SI_SI_SG_SG_SK_SK_SG_SN_SN_SP_SP_SR_SG_SG_NSQ_INS5_IJiNS_17integral_constantIiLi128EEEEEELb0EEENSF_INS27_IiLi2EEEEEEEENS5_IJSU_SV_SW_SX_SY_SZ_S10_S11_S12_S13_S14_S15_S16_S17_S18_NST_IJLi19EEEES1G_NST_IJLi20EEEEEEENS5_IJS1A_SZ_S10_S11_S12_S1B_S1C_S1D_S1E_S15_S16_S18_S17_S1F_S1G_NST_IJLi22EEEENST_IJLi23ELi24EEEENST_IJLi25EEEEEEENST_IJLi22ELi23ELi24ELi25EEEElEENSB_INS5_IJSR_SP_SP_SR_SG_SG_S2A_S2C_EEENS5_IJSU_SV_SW_SY_SX_SZ_S11_S10_EEENS5_IJS1M_SX_SY_S1N_S11_S12_NST_IJLi9ELi10EEEENST_IJLi11EEEEEEENST_IJLi8ELi9ELi10ELi11EEEElEENS5_IJNSB_INS5_IJSK_SP_SP_NSQ_INS5_IJiS2B_NS27_IiLi64EEEEEELb0EEES2W_EEENS5_IJSU_SV_SW_SX_SY_EEENS5_IJS1M_SX_SY_NST_IJLi5ELi6ELi7EEEENST_IJLi8ELi9ELi10EEEEEEENST_IJLi5ELi6ELi7ELi8ELi9ELi10EEEElEEEEES33_NS_31BlockToCTileMap_M00_N00_M01_N01ILi128ELi128ES1V_Lb0EEENS1_30ComputePtrOffsetOfStridedBatchILi1ELi1ELi1EvEELb0ELb1EEEvPKT0_S3B_T1_PT2_T3_T4_T5_iT6_T7_T8_T9_T10_T11_.numbered_sgpr, 56
	.set _ZN2ck16tensor_operation6device12_GLOBAL__N_137kernel_grouped_conv_fwd_dl_multiple_dINS_32GridwiseGemmDlMultipleD_km_kn_mnILi256EDF16_fNS_5TupleIJDF16_EEEDF16_NS0_12element_wise11PassThroughES8_NS7_7AddReluELNS_25InMemoryDataOperationEnumE0ENS_16TensorDescriptorINS5_IJNS_5EmbedINS5_IJiiiiEEESD_Lb0EEENS_11PassThroughIiEENS_3PadIiiiLb0EEESI_SG_SG_NSC_INS5_IJiiEEESJ_Lb0EEESK_SG_NS_23Merge_v2_magic_divisionINS5_IJiiiEEEEESN_NS_8RightPadIiiLb0EEESP_NS_7UnMergeISJ_Lb0EEESG_EEENS5_IJNS_8SequenceIJLi0EEEENST_IJLi1EEEENST_IJLi2EEEENST_IJLi3EEEENST_IJLi4EEEENST_IJLi5EEEENST_IJLi6EEEENST_IJLi7EEEENST_IJLi8EEEENST_IJLi9ELi11ELi13EEEENST_IJLi10ELi12ELi14EEEENST_IJLi15EEEENST_IJLi16EEEENST_IJLi18EEEENST_IJLi17EEEEEEENS5_IJNST_IJLi1ELi2ELi3ELi4EEEESZ_S10_S11_S12_NST_IJLi9EEEENST_IJLi10ELi11EEEENST_IJLi12ELi13EEEENST_IJLi14EEEES15_S16_S18_S17_NST_IJLi19ELi20EEEENST_IJLi21EEEEEEENST_IJLi19ELi21ELi20EEEElEENSB_INS5_IJSR_SP_SP_SR_SG_EEENS5_IJSU_SV_SW_SY_SX_EEENS5_IJNST_IJLi1ELi2EEEESX_SY_NST_IJLi5ELi6EEEES11_EEENST_IJLi5ELi7ELi6EEEElEENSB_INS5_IJSK_SP_SP_EEENS5_IJSU_SV_SW_EEENS5_IJS1M_SX_SY_EEENST_IJLi3ELi4EEEElEELi128ELi128ELi16ELi2ELi4ELi4ELi1ENST_IJLi8ELi2EEEES1W_NST_IJLi8ELi1ELi1ELi2EEEENST_IJLi2ELi1ELi128ELi1EEEENST_IJLi1ELi2ELi0ELi3EEEES1Z_NST_IJLi4ELi1ELi1ELi2EEEES1Z_NST_IJLi1ELi1ELi1ELi2EEEES1X_S1Y_S1Z_S1Z_S20_S1Z_S21_NST_IJLi0ELi1ELi2ELi3ELi4ELi5EEEELi5ELi4EEEDF16_NS5_IJPKDF16_EEEDF16_S8_S8_S9_NSB_INS5_IJSE_SG_SI_SI_SG_SG_SK_SK_SG_SN_SN_SP_SP_SR_SG_SG_NSQ_INS5_IJiNS_17integral_constantIiLi128EEEEEELb0EEENSF_INS27_IiLi2EEEEEEEENS5_IJSU_SV_SW_SX_SY_SZ_S10_S11_S12_S13_S14_S15_S16_S17_S18_NST_IJLi19EEEES1G_NST_IJLi20EEEEEEENS5_IJS1A_SZ_S10_S11_S12_S1B_S1C_S1D_S1E_S15_S16_S18_S17_S1F_S1G_NST_IJLi22EEEENST_IJLi23ELi24EEEENST_IJLi25EEEEEEENST_IJLi22ELi23ELi24ELi25EEEElEENSB_INS5_IJSR_SP_SP_SR_SG_SG_S2A_S2C_EEENS5_IJSU_SV_SW_SY_SX_SZ_S11_S10_EEENS5_IJS1M_SX_SY_S1N_S11_S12_NST_IJLi9ELi10EEEENST_IJLi11EEEEEEENST_IJLi8ELi9ELi10ELi11EEEElEENS5_IJNSB_INS5_IJSK_SP_SP_NSQ_INS5_IJiS2B_NS27_IiLi64EEEEEELb0EEES2W_EEENS5_IJSU_SV_SW_SX_SY_EEENS5_IJS1M_SX_SY_NST_IJLi5ELi6ELi7EEEENST_IJLi8ELi9ELi10EEEEEEENST_IJLi5ELi6ELi7ELi8ELi9ELi10EEEElEEEEES33_NS_31BlockToCTileMap_M00_N00_M01_N01ILi128ELi128ES1V_Lb0EEENS1_30ComputePtrOffsetOfStridedBatchILi1ELi1ELi1EvEELb0ELb1EEEvPKT0_S3B_T1_PT2_T3_T4_T5_iT6_T7_T8_T9_T10_T11_.num_named_barrier, 0
	.set _ZN2ck16tensor_operation6device12_GLOBAL__N_137kernel_grouped_conv_fwd_dl_multiple_dINS_32GridwiseGemmDlMultipleD_km_kn_mnILi256EDF16_fNS_5TupleIJDF16_EEEDF16_NS0_12element_wise11PassThroughES8_NS7_7AddReluELNS_25InMemoryDataOperationEnumE0ENS_16TensorDescriptorINS5_IJNS_5EmbedINS5_IJiiiiEEESD_Lb0EEENS_11PassThroughIiEENS_3PadIiiiLb0EEESI_SG_SG_NSC_INS5_IJiiEEESJ_Lb0EEESK_SG_NS_23Merge_v2_magic_divisionINS5_IJiiiEEEEESN_NS_8RightPadIiiLb0EEESP_NS_7UnMergeISJ_Lb0EEESG_EEENS5_IJNS_8SequenceIJLi0EEEENST_IJLi1EEEENST_IJLi2EEEENST_IJLi3EEEENST_IJLi4EEEENST_IJLi5EEEENST_IJLi6EEEENST_IJLi7EEEENST_IJLi8EEEENST_IJLi9ELi11ELi13EEEENST_IJLi10ELi12ELi14EEEENST_IJLi15EEEENST_IJLi16EEEENST_IJLi18EEEENST_IJLi17EEEEEEENS5_IJNST_IJLi1ELi2ELi3ELi4EEEESZ_S10_S11_S12_NST_IJLi9EEEENST_IJLi10ELi11EEEENST_IJLi12ELi13EEEENST_IJLi14EEEES15_S16_S18_S17_NST_IJLi19ELi20EEEENST_IJLi21EEEEEEENST_IJLi19ELi21ELi20EEEElEENSB_INS5_IJSR_SP_SP_SR_SG_EEENS5_IJSU_SV_SW_SY_SX_EEENS5_IJNST_IJLi1ELi2EEEESX_SY_NST_IJLi5ELi6EEEES11_EEENST_IJLi5ELi7ELi6EEEElEENSB_INS5_IJSK_SP_SP_EEENS5_IJSU_SV_SW_EEENS5_IJS1M_SX_SY_EEENST_IJLi3ELi4EEEElEELi128ELi128ELi16ELi2ELi4ELi4ELi1ENST_IJLi8ELi2EEEES1W_NST_IJLi8ELi1ELi1ELi2EEEENST_IJLi2ELi1ELi128ELi1EEEENST_IJLi1ELi2ELi0ELi3EEEES1Z_NST_IJLi4ELi1ELi1ELi2EEEES1Z_NST_IJLi1ELi1ELi1ELi2EEEES1X_S1Y_S1Z_S1Z_S20_S1Z_S21_NST_IJLi0ELi1ELi2ELi3ELi4ELi5EEEELi5ELi4EEEDF16_NS5_IJPKDF16_EEEDF16_S8_S8_S9_NSB_INS5_IJSE_SG_SI_SI_SG_SG_SK_SK_SG_SN_SN_SP_SP_SR_SG_SG_NSQ_INS5_IJiNS_17integral_constantIiLi128EEEEEELb0EEENSF_INS27_IiLi2EEEEEEEENS5_IJSU_SV_SW_SX_SY_SZ_S10_S11_S12_S13_S14_S15_S16_S17_S18_NST_IJLi19EEEES1G_NST_IJLi20EEEEEEENS5_IJS1A_SZ_S10_S11_S12_S1B_S1C_S1D_S1E_S15_S16_S18_S17_S1F_S1G_NST_IJLi22EEEENST_IJLi23ELi24EEEENST_IJLi25EEEEEEENST_IJLi22ELi23ELi24ELi25EEEElEENSB_INS5_IJSR_SP_SP_SR_SG_SG_S2A_S2C_EEENS5_IJSU_SV_SW_SY_SX_SZ_S11_S10_EEENS5_IJS1M_SX_SY_S1N_S11_S12_NST_IJLi9ELi10EEEENST_IJLi11EEEEEEENST_IJLi8ELi9ELi10ELi11EEEElEENS5_IJNSB_INS5_IJSK_SP_SP_NSQ_INS5_IJiS2B_NS27_IiLi64EEEEEELb0EEES2W_EEENS5_IJSU_SV_SW_SX_SY_EEENS5_IJS1M_SX_SY_NST_IJLi5ELi6ELi7EEEENST_IJLi8ELi9ELi10EEEEEEENST_IJLi5ELi6ELi7ELi8ELi9ELi10EEEElEEEEES33_NS_31BlockToCTileMap_M00_N00_M01_N01ILi128ELi128ES1V_Lb0EEENS1_30ComputePtrOffsetOfStridedBatchILi1ELi1ELi1EvEELb0ELb1EEEvPKT0_S3B_T1_PT2_T3_T4_T5_iT6_T7_T8_T9_T10_T11_.private_seg_size, 0
	.set _ZN2ck16tensor_operation6device12_GLOBAL__N_137kernel_grouped_conv_fwd_dl_multiple_dINS_32GridwiseGemmDlMultipleD_km_kn_mnILi256EDF16_fNS_5TupleIJDF16_EEEDF16_NS0_12element_wise11PassThroughES8_NS7_7AddReluELNS_25InMemoryDataOperationEnumE0ENS_16TensorDescriptorINS5_IJNS_5EmbedINS5_IJiiiiEEESD_Lb0EEENS_11PassThroughIiEENS_3PadIiiiLb0EEESI_SG_SG_NSC_INS5_IJiiEEESJ_Lb0EEESK_SG_NS_23Merge_v2_magic_divisionINS5_IJiiiEEEEESN_NS_8RightPadIiiLb0EEESP_NS_7UnMergeISJ_Lb0EEESG_EEENS5_IJNS_8SequenceIJLi0EEEENST_IJLi1EEEENST_IJLi2EEEENST_IJLi3EEEENST_IJLi4EEEENST_IJLi5EEEENST_IJLi6EEEENST_IJLi7EEEENST_IJLi8EEEENST_IJLi9ELi11ELi13EEEENST_IJLi10ELi12ELi14EEEENST_IJLi15EEEENST_IJLi16EEEENST_IJLi18EEEENST_IJLi17EEEEEEENS5_IJNST_IJLi1ELi2ELi3ELi4EEEESZ_S10_S11_S12_NST_IJLi9EEEENST_IJLi10ELi11EEEENST_IJLi12ELi13EEEENST_IJLi14EEEES15_S16_S18_S17_NST_IJLi19ELi20EEEENST_IJLi21EEEEEEENST_IJLi19ELi21ELi20EEEElEENSB_INS5_IJSR_SP_SP_SR_SG_EEENS5_IJSU_SV_SW_SY_SX_EEENS5_IJNST_IJLi1ELi2EEEESX_SY_NST_IJLi5ELi6EEEES11_EEENST_IJLi5ELi7ELi6EEEElEENSB_INS5_IJSK_SP_SP_EEENS5_IJSU_SV_SW_EEENS5_IJS1M_SX_SY_EEENST_IJLi3ELi4EEEElEELi128ELi128ELi16ELi2ELi4ELi4ELi1ENST_IJLi8ELi2EEEES1W_NST_IJLi8ELi1ELi1ELi2EEEENST_IJLi2ELi1ELi128ELi1EEEENST_IJLi1ELi2ELi0ELi3EEEES1Z_NST_IJLi4ELi1ELi1ELi2EEEES1Z_NST_IJLi1ELi1ELi1ELi2EEEES1X_S1Y_S1Z_S1Z_S20_S1Z_S21_NST_IJLi0ELi1ELi2ELi3ELi4ELi5EEEELi5ELi4EEEDF16_NS5_IJPKDF16_EEEDF16_S8_S8_S9_NSB_INS5_IJSE_SG_SI_SI_SG_SG_SK_SK_SG_SN_SN_SP_SP_SR_SG_SG_NSQ_INS5_IJiNS_17integral_constantIiLi128EEEEEELb0EEENSF_INS27_IiLi2EEEEEEEENS5_IJSU_SV_SW_SX_SY_SZ_S10_S11_S12_S13_S14_S15_S16_S17_S18_NST_IJLi19EEEES1G_NST_IJLi20EEEEEEENS5_IJS1A_SZ_S10_S11_S12_S1B_S1C_S1D_S1E_S15_S16_S18_S17_S1F_S1G_NST_IJLi22EEEENST_IJLi23ELi24EEEENST_IJLi25EEEEEEENST_IJLi22ELi23ELi24ELi25EEEElEENSB_INS5_IJSR_SP_SP_SR_SG_SG_S2A_S2C_EEENS5_IJSU_SV_SW_SY_SX_SZ_S11_S10_EEENS5_IJS1M_SX_SY_S1N_S11_S12_NST_IJLi9ELi10EEEENST_IJLi11EEEEEEENST_IJLi8ELi9ELi10ELi11EEEElEENS5_IJNSB_INS5_IJSK_SP_SP_NSQ_INS5_IJiS2B_NS27_IiLi64EEEEEELb0EEES2W_EEENS5_IJSU_SV_SW_SX_SY_EEENS5_IJS1M_SX_SY_NST_IJLi5ELi6ELi7EEEENST_IJLi8ELi9ELi10EEEEEEENST_IJLi5ELi6ELi7ELi8ELi9ELi10EEEElEEEEES33_NS_31BlockToCTileMap_M00_N00_M01_N01ILi128ELi128ES1V_Lb0EEENS1_30ComputePtrOffsetOfStridedBatchILi1ELi1ELi1EvEELb0ELb1EEEvPKT0_S3B_T1_PT2_T3_T4_T5_iT6_T7_T8_T9_T10_T11_.uses_vcc, 1
	.set _ZN2ck16tensor_operation6device12_GLOBAL__N_137kernel_grouped_conv_fwd_dl_multiple_dINS_32GridwiseGemmDlMultipleD_km_kn_mnILi256EDF16_fNS_5TupleIJDF16_EEEDF16_NS0_12element_wise11PassThroughES8_NS7_7AddReluELNS_25InMemoryDataOperationEnumE0ENS_16TensorDescriptorINS5_IJNS_5EmbedINS5_IJiiiiEEESD_Lb0EEENS_11PassThroughIiEENS_3PadIiiiLb0EEESI_SG_SG_NSC_INS5_IJiiEEESJ_Lb0EEESK_SG_NS_23Merge_v2_magic_divisionINS5_IJiiiEEEEESN_NS_8RightPadIiiLb0EEESP_NS_7UnMergeISJ_Lb0EEESG_EEENS5_IJNS_8SequenceIJLi0EEEENST_IJLi1EEEENST_IJLi2EEEENST_IJLi3EEEENST_IJLi4EEEENST_IJLi5EEEENST_IJLi6EEEENST_IJLi7EEEENST_IJLi8EEEENST_IJLi9ELi11ELi13EEEENST_IJLi10ELi12ELi14EEEENST_IJLi15EEEENST_IJLi16EEEENST_IJLi18EEEENST_IJLi17EEEEEEENS5_IJNST_IJLi1ELi2ELi3ELi4EEEESZ_S10_S11_S12_NST_IJLi9EEEENST_IJLi10ELi11EEEENST_IJLi12ELi13EEEENST_IJLi14EEEES15_S16_S18_S17_NST_IJLi19ELi20EEEENST_IJLi21EEEEEEENST_IJLi19ELi21ELi20EEEElEENSB_INS5_IJSR_SP_SP_SR_SG_EEENS5_IJSU_SV_SW_SY_SX_EEENS5_IJNST_IJLi1ELi2EEEESX_SY_NST_IJLi5ELi6EEEES11_EEENST_IJLi5ELi7ELi6EEEElEENSB_INS5_IJSK_SP_SP_EEENS5_IJSU_SV_SW_EEENS5_IJS1M_SX_SY_EEENST_IJLi3ELi4EEEElEELi128ELi128ELi16ELi2ELi4ELi4ELi1ENST_IJLi8ELi2EEEES1W_NST_IJLi8ELi1ELi1ELi2EEEENST_IJLi2ELi1ELi128ELi1EEEENST_IJLi1ELi2ELi0ELi3EEEES1Z_NST_IJLi4ELi1ELi1ELi2EEEES1Z_NST_IJLi1ELi1ELi1ELi2EEEES1X_S1Y_S1Z_S1Z_S20_S1Z_S21_NST_IJLi0ELi1ELi2ELi3ELi4ELi5EEEELi5ELi4EEEDF16_NS5_IJPKDF16_EEEDF16_S8_S8_S9_NSB_INS5_IJSE_SG_SI_SI_SG_SG_SK_SK_SG_SN_SN_SP_SP_SR_SG_SG_NSQ_INS5_IJiNS_17integral_constantIiLi128EEEEEELb0EEENSF_INS27_IiLi2EEEEEEEENS5_IJSU_SV_SW_SX_SY_SZ_S10_S11_S12_S13_S14_S15_S16_S17_S18_NST_IJLi19EEEES1G_NST_IJLi20EEEEEEENS5_IJS1A_SZ_S10_S11_S12_S1B_S1C_S1D_S1E_S15_S16_S18_S17_S1F_S1G_NST_IJLi22EEEENST_IJLi23ELi24EEEENST_IJLi25EEEEEEENST_IJLi22ELi23ELi24ELi25EEEElEENSB_INS5_IJSR_SP_SP_SR_SG_SG_S2A_S2C_EEENS5_IJSU_SV_SW_SY_SX_SZ_S11_S10_EEENS5_IJS1M_SX_SY_S1N_S11_S12_NST_IJLi9ELi10EEEENST_IJLi11EEEEEEENST_IJLi8ELi9ELi10ELi11EEEElEENS5_IJNSB_INS5_IJSK_SP_SP_NSQ_INS5_IJiS2B_NS27_IiLi64EEEEEELb0EEES2W_EEENS5_IJSU_SV_SW_SX_SY_EEENS5_IJS1M_SX_SY_NST_IJLi5ELi6ELi7EEEENST_IJLi8ELi9ELi10EEEEEEENST_IJLi5ELi6ELi7ELi8ELi9ELi10EEEElEEEEES33_NS_31BlockToCTileMap_M00_N00_M01_N01ILi128ELi128ES1V_Lb0EEENS1_30ComputePtrOffsetOfStridedBatchILi1ELi1ELi1EvEELb0ELb1EEEvPKT0_S3B_T1_PT2_T3_T4_T5_iT6_T7_T8_T9_T10_T11_.uses_flat_scratch, 0
	.set _ZN2ck16tensor_operation6device12_GLOBAL__N_137kernel_grouped_conv_fwd_dl_multiple_dINS_32GridwiseGemmDlMultipleD_km_kn_mnILi256EDF16_fNS_5TupleIJDF16_EEEDF16_NS0_12element_wise11PassThroughES8_NS7_7AddReluELNS_25InMemoryDataOperationEnumE0ENS_16TensorDescriptorINS5_IJNS_5EmbedINS5_IJiiiiEEESD_Lb0EEENS_11PassThroughIiEENS_3PadIiiiLb0EEESI_SG_SG_NSC_INS5_IJiiEEESJ_Lb0EEESK_SG_NS_23Merge_v2_magic_divisionINS5_IJiiiEEEEESN_NS_8RightPadIiiLb0EEESP_NS_7UnMergeISJ_Lb0EEESG_EEENS5_IJNS_8SequenceIJLi0EEEENST_IJLi1EEEENST_IJLi2EEEENST_IJLi3EEEENST_IJLi4EEEENST_IJLi5EEEENST_IJLi6EEEENST_IJLi7EEEENST_IJLi8EEEENST_IJLi9ELi11ELi13EEEENST_IJLi10ELi12ELi14EEEENST_IJLi15EEEENST_IJLi16EEEENST_IJLi18EEEENST_IJLi17EEEEEEENS5_IJNST_IJLi1ELi2ELi3ELi4EEEESZ_S10_S11_S12_NST_IJLi9EEEENST_IJLi10ELi11EEEENST_IJLi12ELi13EEEENST_IJLi14EEEES15_S16_S18_S17_NST_IJLi19ELi20EEEENST_IJLi21EEEEEEENST_IJLi19ELi21ELi20EEEElEENSB_INS5_IJSR_SP_SP_SR_SG_EEENS5_IJSU_SV_SW_SY_SX_EEENS5_IJNST_IJLi1ELi2EEEESX_SY_NST_IJLi5ELi6EEEES11_EEENST_IJLi5ELi7ELi6EEEElEENSB_INS5_IJSK_SP_SP_EEENS5_IJSU_SV_SW_EEENS5_IJS1M_SX_SY_EEENST_IJLi3ELi4EEEElEELi128ELi128ELi16ELi2ELi4ELi4ELi1ENST_IJLi8ELi2EEEES1W_NST_IJLi8ELi1ELi1ELi2EEEENST_IJLi2ELi1ELi128ELi1EEEENST_IJLi1ELi2ELi0ELi3EEEES1Z_NST_IJLi4ELi1ELi1ELi2EEEES1Z_NST_IJLi1ELi1ELi1ELi2EEEES1X_S1Y_S1Z_S1Z_S20_S1Z_S21_NST_IJLi0ELi1ELi2ELi3ELi4ELi5EEEELi5ELi4EEEDF16_NS5_IJPKDF16_EEEDF16_S8_S8_S9_NSB_INS5_IJSE_SG_SI_SI_SG_SG_SK_SK_SG_SN_SN_SP_SP_SR_SG_SG_NSQ_INS5_IJiNS_17integral_constantIiLi128EEEEEELb0EEENSF_INS27_IiLi2EEEEEEEENS5_IJSU_SV_SW_SX_SY_SZ_S10_S11_S12_S13_S14_S15_S16_S17_S18_NST_IJLi19EEEES1G_NST_IJLi20EEEEEEENS5_IJS1A_SZ_S10_S11_S12_S1B_S1C_S1D_S1E_S15_S16_S18_S17_S1F_S1G_NST_IJLi22EEEENST_IJLi23ELi24EEEENST_IJLi25EEEEEEENST_IJLi22ELi23ELi24ELi25EEEElEENSB_INS5_IJSR_SP_SP_SR_SG_SG_S2A_S2C_EEENS5_IJSU_SV_SW_SY_SX_SZ_S11_S10_EEENS5_IJS1M_SX_SY_S1N_S11_S12_NST_IJLi9ELi10EEEENST_IJLi11EEEEEEENST_IJLi8ELi9ELi10ELi11EEEElEENS5_IJNSB_INS5_IJSK_SP_SP_NSQ_INS5_IJiS2B_NS27_IiLi64EEEEEELb0EEES2W_EEENS5_IJSU_SV_SW_SX_SY_EEENS5_IJS1M_SX_SY_NST_IJLi5ELi6ELi7EEEENST_IJLi8ELi9ELi10EEEEEEENST_IJLi5ELi6ELi7ELi8ELi9ELi10EEEElEEEEES33_NS_31BlockToCTileMap_M00_N00_M01_N01ILi128ELi128ES1V_Lb0EEENS1_30ComputePtrOffsetOfStridedBatchILi1ELi1ELi1EvEELb0ELb1EEEvPKT0_S3B_T1_PT2_T3_T4_T5_iT6_T7_T8_T9_T10_T11_.has_dyn_sized_stack, 0
	.set _ZN2ck16tensor_operation6device12_GLOBAL__N_137kernel_grouped_conv_fwd_dl_multiple_dINS_32GridwiseGemmDlMultipleD_km_kn_mnILi256EDF16_fNS_5TupleIJDF16_EEEDF16_NS0_12element_wise11PassThroughES8_NS7_7AddReluELNS_25InMemoryDataOperationEnumE0ENS_16TensorDescriptorINS5_IJNS_5EmbedINS5_IJiiiiEEESD_Lb0EEENS_11PassThroughIiEENS_3PadIiiiLb0EEESI_SG_SG_NSC_INS5_IJiiEEESJ_Lb0EEESK_SG_NS_23Merge_v2_magic_divisionINS5_IJiiiEEEEESN_NS_8RightPadIiiLb0EEESP_NS_7UnMergeISJ_Lb0EEESG_EEENS5_IJNS_8SequenceIJLi0EEEENST_IJLi1EEEENST_IJLi2EEEENST_IJLi3EEEENST_IJLi4EEEENST_IJLi5EEEENST_IJLi6EEEENST_IJLi7EEEENST_IJLi8EEEENST_IJLi9ELi11ELi13EEEENST_IJLi10ELi12ELi14EEEENST_IJLi15EEEENST_IJLi16EEEENST_IJLi18EEEENST_IJLi17EEEEEEENS5_IJNST_IJLi1ELi2ELi3ELi4EEEESZ_S10_S11_S12_NST_IJLi9EEEENST_IJLi10ELi11EEEENST_IJLi12ELi13EEEENST_IJLi14EEEES15_S16_S18_S17_NST_IJLi19ELi20EEEENST_IJLi21EEEEEEENST_IJLi19ELi21ELi20EEEElEENSB_INS5_IJSR_SP_SP_SR_SG_EEENS5_IJSU_SV_SW_SY_SX_EEENS5_IJNST_IJLi1ELi2EEEESX_SY_NST_IJLi5ELi6EEEES11_EEENST_IJLi5ELi7ELi6EEEElEENSB_INS5_IJSK_SP_SP_EEENS5_IJSU_SV_SW_EEENS5_IJS1M_SX_SY_EEENST_IJLi3ELi4EEEElEELi128ELi128ELi16ELi2ELi4ELi4ELi1ENST_IJLi8ELi2EEEES1W_NST_IJLi8ELi1ELi1ELi2EEEENST_IJLi2ELi1ELi128ELi1EEEENST_IJLi1ELi2ELi0ELi3EEEES1Z_NST_IJLi4ELi1ELi1ELi2EEEES1Z_NST_IJLi1ELi1ELi1ELi2EEEES1X_S1Y_S1Z_S1Z_S20_S1Z_S21_NST_IJLi0ELi1ELi2ELi3ELi4ELi5EEEELi5ELi4EEEDF16_NS5_IJPKDF16_EEEDF16_S8_S8_S9_NSB_INS5_IJSE_SG_SI_SI_SG_SG_SK_SK_SG_SN_SN_SP_SP_SR_SG_SG_NSQ_INS5_IJiNS_17integral_constantIiLi128EEEEEELb0EEENSF_INS27_IiLi2EEEEEEEENS5_IJSU_SV_SW_SX_SY_SZ_S10_S11_S12_S13_S14_S15_S16_S17_S18_NST_IJLi19EEEES1G_NST_IJLi20EEEEEEENS5_IJS1A_SZ_S10_S11_S12_S1B_S1C_S1D_S1E_S15_S16_S18_S17_S1F_S1G_NST_IJLi22EEEENST_IJLi23ELi24EEEENST_IJLi25EEEEEEENST_IJLi22ELi23ELi24ELi25EEEElEENSB_INS5_IJSR_SP_SP_SR_SG_SG_S2A_S2C_EEENS5_IJSU_SV_SW_SY_SX_SZ_S11_S10_EEENS5_IJS1M_SX_SY_S1N_S11_S12_NST_IJLi9ELi10EEEENST_IJLi11EEEEEEENST_IJLi8ELi9ELi10ELi11EEEElEENS5_IJNSB_INS5_IJSK_SP_SP_NSQ_INS5_IJiS2B_NS27_IiLi64EEEEEELb0EEES2W_EEENS5_IJSU_SV_SW_SX_SY_EEENS5_IJS1M_SX_SY_NST_IJLi5ELi6ELi7EEEENST_IJLi8ELi9ELi10EEEEEEENST_IJLi5ELi6ELi7ELi8ELi9ELi10EEEElEEEEES33_NS_31BlockToCTileMap_M00_N00_M01_N01ILi128ELi128ES1V_Lb0EEENS1_30ComputePtrOffsetOfStridedBatchILi1ELi1ELi1EvEELb0ELb1EEEvPKT0_S3B_T1_PT2_T3_T4_T5_iT6_T7_T8_T9_T10_T11_.has_recursion, 0
	.set _ZN2ck16tensor_operation6device12_GLOBAL__N_137kernel_grouped_conv_fwd_dl_multiple_dINS_32GridwiseGemmDlMultipleD_km_kn_mnILi256EDF16_fNS_5TupleIJDF16_EEEDF16_NS0_12element_wise11PassThroughES8_NS7_7AddReluELNS_25InMemoryDataOperationEnumE0ENS_16TensorDescriptorINS5_IJNS_5EmbedINS5_IJiiiiEEESD_Lb0EEENS_11PassThroughIiEENS_3PadIiiiLb0EEESI_SG_SG_NSC_INS5_IJiiEEESJ_Lb0EEESK_SG_NS_23Merge_v2_magic_divisionINS5_IJiiiEEEEESN_NS_8RightPadIiiLb0EEESP_NS_7UnMergeISJ_Lb0EEESG_EEENS5_IJNS_8SequenceIJLi0EEEENST_IJLi1EEEENST_IJLi2EEEENST_IJLi3EEEENST_IJLi4EEEENST_IJLi5EEEENST_IJLi6EEEENST_IJLi7EEEENST_IJLi8EEEENST_IJLi9ELi11ELi13EEEENST_IJLi10ELi12ELi14EEEENST_IJLi15EEEENST_IJLi16EEEENST_IJLi18EEEENST_IJLi17EEEEEEENS5_IJNST_IJLi1ELi2ELi3ELi4EEEESZ_S10_S11_S12_NST_IJLi9EEEENST_IJLi10ELi11EEEENST_IJLi12ELi13EEEENST_IJLi14EEEES15_S16_S18_S17_NST_IJLi19ELi20EEEENST_IJLi21EEEEEEENST_IJLi19ELi21ELi20EEEElEENSB_INS5_IJSR_SP_SP_SR_SG_EEENS5_IJSU_SV_SW_SY_SX_EEENS5_IJNST_IJLi1ELi2EEEESX_SY_NST_IJLi5ELi6EEEES11_EEENST_IJLi5ELi7ELi6EEEElEENSB_INS5_IJSK_SP_SP_EEENS5_IJSU_SV_SW_EEENS5_IJS1M_SX_SY_EEENST_IJLi3ELi4EEEElEELi128ELi128ELi16ELi2ELi4ELi4ELi1ENST_IJLi8ELi2EEEES1W_NST_IJLi8ELi1ELi1ELi2EEEENST_IJLi2ELi1ELi128ELi1EEEENST_IJLi1ELi2ELi0ELi3EEEES1Z_NST_IJLi4ELi1ELi1ELi2EEEES1Z_NST_IJLi1ELi1ELi1ELi2EEEES1X_S1Y_S1Z_S1Z_S20_S1Z_S21_NST_IJLi0ELi1ELi2ELi3ELi4ELi5EEEELi5ELi4EEEDF16_NS5_IJPKDF16_EEEDF16_S8_S8_S9_NSB_INS5_IJSE_SG_SI_SI_SG_SG_SK_SK_SG_SN_SN_SP_SP_SR_SG_SG_NSQ_INS5_IJiNS_17integral_constantIiLi128EEEEEELb0EEENSF_INS27_IiLi2EEEEEEEENS5_IJSU_SV_SW_SX_SY_SZ_S10_S11_S12_S13_S14_S15_S16_S17_S18_NST_IJLi19EEEES1G_NST_IJLi20EEEEEEENS5_IJS1A_SZ_S10_S11_S12_S1B_S1C_S1D_S1E_S15_S16_S18_S17_S1F_S1G_NST_IJLi22EEEENST_IJLi23ELi24EEEENST_IJLi25EEEEEEENST_IJLi22ELi23ELi24ELi25EEEElEENSB_INS5_IJSR_SP_SP_SR_SG_SG_S2A_S2C_EEENS5_IJSU_SV_SW_SY_SX_SZ_S11_S10_EEENS5_IJS1M_SX_SY_S1N_S11_S12_NST_IJLi9ELi10EEEENST_IJLi11EEEEEEENST_IJLi8ELi9ELi10ELi11EEEElEENS5_IJNSB_INS5_IJSK_SP_SP_NSQ_INS5_IJiS2B_NS27_IiLi64EEEEEELb0EEES2W_EEENS5_IJSU_SV_SW_SX_SY_EEENS5_IJS1M_SX_SY_NST_IJLi5ELi6ELi7EEEENST_IJLi8ELi9ELi10EEEEEEENST_IJLi5ELi6ELi7ELi8ELi9ELi10EEEElEEEEES33_NS_31BlockToCTileMap_M00_N00_M01_N01ILi128ELi128ES1V_Lb0EEENS1_30ComputePtrOffsetOfStridedBatchILi1ELi1ELi1EvEELb0ELb1EEEvPKT0_S3B_T1_PT2_T3_T4_T5_iT6_T7_T8_T9_T10_T11_.has_indirect_call, 0
	.section	.AMDGPU.csdata,"",@progbits
; Kernel info:
; codeLenInByte = 14804
; TotalNumSgprs: 62
; NumVgprs: 95
; NumAgprs: 0
; TotalNumVgprs: 95
; ScratchSize: 0
; MemoryBound: 0
; FloatMode: 240
; IeeeMode: 1
; LDSByteSize: 32768 bytes/workgroup (compile time only)
; SGPRBlocks: 12
; VGPRBlocks: 11
; NumSGPRsForWavesPerEU: 102
; NumVGPRsForWavesPerEU: 95
; AccumOffset: 96
; Occupancy: 5
; WaveLimiterHint : 1
; COMPUTE_PGM_RSRC2:SCRATCH_EN: 0
; COMPUTE_PGM_RSRC2:USER_SGPR: 2
; COMPUTE_PGM_RSRC2:TRAP_HANDLER: 0
; COMPUTE_PGM_RSRC2:TGID_X_EN: 1
; COMPUTE_PGM_RSRC2:TGID_Y_EN: 0
; COMPUTE_PGM_RSRC2:TGID_Z_EN: 0
; COMPUTE_PGM_RSRC2:TIDIG_COMP_CNT: 0
; COMPUTE_PGM_RSRC3_GFX90A:ACCUM_OFFSET: 23
; COMPUTE_PGM_RSRC3_GFX90A:TG_SPLIT: 0
	.section	.text._ZN2ck16tensor_operation6device12_GLOBAL__N_137kernel_grouped_conv_fwd_dl_multiple_dINS_32GridwiseGemmDlMultipleD_km_kn_mnILi256EDF16_fNS_5TupleIJDF16_EEEDF16_NS0_12element_wise11PassThroughES8_NS7_7AddReluELNS_25InMemoryDataOperationEnumE0ENS_16TensorDescriptorINS5_IJNS_5EmbedINS5_IJiiiiEEESD_Lb0EEENS_11PassThroughIiEENS_3PadIiiiLb0EEESI_SG_SG_NSC_INS5_IJiiEEESJ_Lb0EEESK_SG_NS_23Merge_v2_magic_divisionINS5_IJiiiEEEEESN_NS_8RightPadIiiLb0EEESP_NS_7UnMergeISJ_Lb0EEESG_EEENS5_IJNS_8SequenceIJLi0EEEENST_IJLi1EEEENST_IJLi2EEEENST_IJLi3EEEENST_IJLi4EEEENST_IJLi5EEEENST_IJLi6EEEENST_IJLi7EEEENST_IJLi8EEEENST_IJLi9ELi11ELi13EEEENST_IJLi10ELi12ELi14EEEENST_IJLi15EEEENST_IJLi16EEEENST_IJLi18EEEENST_IJLi17EEEEEEENS5_IJNST_IJLi1ELi2ELi3ELi4EEEESZ_S10_S11_S12_NST_IJLi9EEEENST_IJLi10ELi11EEEENST_IJLi12ELi13EEEENST_IJLi14EEEES15_S16_S18_S17_NST_IJLi19ELi20EEEENST_IJLi21EEEEEEENST_IJLi19ELi21ELi20EEEElEENSB_INS5_IJSR_SP_SP_SR_SG_EEENS5_IJSU_SV_SW_SY_SX_EEENS5_IJNST_IJLi1ELi2EEEESX_SY_NST_IJLi5ELi6EEEES11_EEENST_IJLi5ELi7ELi6EEEElEENSB_INS5_IJSK_SP_SP_EEENS5_IJSU_SV_SW_EEENS5_IJS1M_SX_SY_EEENST_IJLi3ELi4EEEElEELi128ELi128ELi16ELi2ELi4ELi4ELi1ENST_IJLi8ELi2EEEES1W_NST_IJLi8ELi1ELi1ELi2EEEENST_IJLi2ELi1ELi128ELi1EEEENST_IJLi1ELi2ELi0ELi3EEEES1Z_NST_IJLi4ELi1ELi1ELi2EEEES1Z_NST_IJLi1ELi1ELi1ELi2EEEES1X_S1Y_S1Z_S1Z_S20_S1Z_S21_NST_IJLi0ELi1ELi2ELi3ELi4ELi5EEEELi5ELi4EEEDF16_NS5_IJPKDF16_EEEDF16_S8_S8_S9_NSB_INS5_IJSE_SG_SI_SI_SG_SG_SK_SK_SG_SN_SN_SP_SP_SR_SG_SG_NSQ_INS5_IJiNS_17integral_constantIiLi128EEEEEELb0EEENSF_INS27_IiLi2EEEEEEEENS5_IJSU_SV_SW_SX_SY_SZ_S10_S11_S12_S13_S14_S15_S16_S17_S18_NST_IJLi19EEEES1G_NST_IJLi20EEEEEEENS5_IJS1A_SZ_S10_S11_S12_S1B_S1C_S1D_S1E_S15_S16_S18_S17_S1F_S1G_NST_IJLi22EEEENST_IJLi23ELi24EEEENST_IJLi25EEEEEEENST_IJLi22ELi23ELi24ELi25EEEElEENSB_INS5_IJSR_SP_SP_SR_SG_SG_S2A_S2C_EEENS5_IJSU_SV_SW_SY_SX_SZ_S11_S10_EEENS5_IJS1M_SX_SY_S1N_S11_S12_NST_IJLi9ELi10EEEENST_IJLi11EEEEEEENST_IJLi8ELi9ELi10ELi11EEEElEENS5_IJNSB_INS5_IJSK_SP_SP_NSQ_INS5_IJiS2B_NS27_IiLi64EEEEEELb0EEES2W_EEENS5_IJSU_SV_SW_SX_SY_EEENS5_IJS1M_SX_SY_NST_IJLi5ELi6ELi7EEEENST_IJLi8ELi9ELi10EEEEEEENST_IJLi5ELi6ELi7ELi8ELi9ELi10EEEElEEEEES33_NS_31BlockToCTileMap_M00_N00_M01_N01ILi128ELi128ES1V_Lb0EEENS1_30ComputePtrOffsetOfStridedBatchILi1ELi1ELi1EvEELb0ELb0EEEvPKT0_S3B_T1_PT2_T3_T4_T5_iT6_T7_T8_T9_T10_T11_,"axG",@progbits,_ZN2ck16tensor_operation6device12_GLOBAL__N_137kernel_grouped_conv_fwd_dl_multiple_dINS_32GridwiseGemmDlMultipleD_km_kn_mnILi256EDF16_fNS_5TupleIJDF16_EEEDF16_NS0_12element_wise11PassThroughES8_NS7_7AddReluELNS_25InMemoryDataOperationEnumE0ENS_16TensorDescriptorINS5_IJNS_5EmbedINS5_IJiiiiEEESD_Lb0EEENS_11PassThroughIiEENS_3PadIiiiLb0EEESI_SG_SG_NSC_INS5_IJiiEEESJ_Lb0EEESK_SG_NS_23Merge_v2_magic_divisionINS5_IJiiiEEEEESN_NS_8RightPadIiiLb0EEESP_NS_7UnMergeISJ_Lb0EEESG_EEENS5_IJNS_8SequenceIJLi0EEEENST_IJLi1EEEENST_IJLi2EEEENST_IJLi3EEEENST_IJLi4EEEENST_IJLi5EEEENST_IJLi6EEEENST_IJLi7EEEENST_IJLi8EEEENST_IJLi9ELi11ELi13EEEENST_IJLi10ELi12ELi14EEEENST_IJLi15EEEENST_IJLi16EEEENST_IJLi18EEEENST_IJLi17EEEEEEENS5_IJNST_IJLi1ELi2ELi3ELi4EEEESZ_S10_S11_S12_NST_IJLi9EEEENST_IJLi10ELi11EEEENST_IJLi12ELi13EEEENST_IJLi14EEEES15_S16_S18_S17_NST_IJLi19ELi20EEEENST_IJLi21EEEEEEENST_IJLi19ELi21ELi20EEEElEENSB_INS5_IJSR_SP_SP_SR_SG_EEENS5_IJSU_SV_SW_SY_SX_EEENS5_IJNST_IJLi1ELi2EEEESX_SY_NST_IJLi5ELi6EEEES11_EEENST_IJLi5ELi7ELi6EEEElEENSB_INS5_IJSK_SP_SP_EEENS5_IJSU_SV_SW_EEENS5_IJS1M_SX_SY_EEENST_IJLi3ELi4EEEElEELi128ELi128ELi16ELi2ELi4ELi4ELi1ENST_IJLi8ELi2EEEES1W_NST_IJLi8ELi1ELi1ELi2EEEENST_IJLi2ELi1ELi128ELi1EEEENST_IJLi1ELi2ELi0ELi3EEEES1Z_NST_IJLi4ELi1ELi1ELi2EEEES1Z_NST_IJLi1ELi1ELi1ELi2EEEES1X_S1Y_S1Z_S1Z_S20_S1Z_S21_NST_IJLi0ELi1ELi2ELi3ELi4ELi5EEEELi5ELi4EEEDF16_NS5_IJPKDF16_EEEDF16_S8_S8_S9_NSB_INS5_IJSE_SG_SI_SI_SG_SG_SK_SK_SG_SN_SN_SP_SP_SR_SG_SG_NSQ_INS5_IJiNS_17integral_constantIiLi128EEEEEELb0EEENSF_INS27_IiLi2EEEEEEEENS5_IJSU_SV_SW_SX_SY_SZ_S10_S11_S12_S13_S14_S15_S16_S17_S18_NST_IJLi19EEEES1G_NST_IJLi20EEEEEEENS5_IJS1A_SZ_S10_S11_S12_S1B_S1C_S1D_S1E_S15_S16_S18_S17_S1F_S1G_NST_IJLi22EEEENST_IJLi23ELi24EEEENST_IJLi25EEEEEEENST_IJLi22ELi23ELi24ELi25EEEElEENSB_INS5_IJSR_SP_SP_SR_SG_SG_S2A_S2C_EEENS5_IJSU_SV_SW_SY_SX_SZ_S11_S10_EEENS5_IJS1M_SX_SY_S1N_S11_S12_NST_IJLi9ELi10EEEENST_IJLi11EEEEEEENST_IJLi8ELi9ELi10ELi11EEEElEENS5_IJNSB_INS5_IJSK_SP_SP_NSQ_INS5_IJiS2B_NS27_IiLi64EEEEEELb0EEES2W_EEENS5_IJSU_SV_SW_SX_SY_EEENS5_IJS1M_SX_SY_NST_IJLi5ELi6ELi7EEEENST_IJLi8ELi9ELi10EEEEEEENST_IJLi5ELi6ELi7ELi8ELi9ELi10EEEElEEEEES33_NS_31BlockToCTileMap_M00_N00_M01_N01ILi128ELi128ES1V_Lb0EEENS1_30ComputePtrOffsetOfStridedBatchILi1ELi1ELi1EvEELb0ELb0EEEvPKT0_S3B_T1_PT2_T3_T4_T5_iT6_T7_T8_T9_T10_T11_,comdat
	.globl	_ZN2ck16tensor_operation6device12_GLOBAL__N_137kernel_grouped_conv_fwd_dl_multiple_dINS_32GridwiseGemmDlMultipleD_km_kn_mnILi256EDF16_fNS_5TupleIJDF16_EEEDF16_NS0_12element_wise11PassThroughES8_NS7_7AddReluELNS_25InMemoryDataOperationEnumE0ENS_16TensorDescriptorINS5_IJNS_5EmbedINS5_IJiiiiEEESD_Lb0EEENS_11PassThroughIiEENS_3PadIiiiLb0EEESI_SG_SG_NSC_INS5_IJiiEEESJ_Lb0EEESK_SG_NS_23Merge_v2_magic_divisionINS5_IJiiiEEEEESN_NS_8RightPadIiiLb0EEESP_NS_7UnMergeISJ_Lb0EEESG_EEENS5_IJNS_8SequenceIJLi0EEEENST_IJLi1EEEENST_IJLi2EEEENST_IJLi3EEEENST_IJLi4EEEENST_IJLi5EEEENST_IJLi6EEEENST_IJLi7EEEENST_IJLi8EEEENST_IJLi9ELi11ELi13EEEENST_IJLi10ELi12ELi14EEEENST_IJLi15EEEENST_IJLi16EEEENST_IJLi18EEEENST_IJLi17EEEEEEENS5_IJNST_IJLi1ELi2ELi3ELi4EEEESZ_S10_S11_S12_NST_IJLi9EEEENST_IJLi10ELi11EEEENST_IJLi12ELi13EEEENST_IJLi14EEEES15_S16_S18_S17_NST_IJLi19ELi20EEEENST_IJLi21EEEEEEENST_IJLi19ELi21ELi20EEEElEENSB_INS5_IJSR_SP_SP_SR_SG_EEENS5_IJSU_SV_SW_SY_SX_EEENS5_IJNST_IJLi1ELi2EEEESX_SY_NST_IJLi5ELi6EEEES11_EEENST_IJLi5ELi7ELi6EEEElEENSB_INS5_IJSK_SP_SP_EEENS5_IJSU_SV_SW_EEENS5_IJS1M_SX_SY_EEENST_IJLi3ELi4EEEElEELi128ELi128ELi16ELi2ELi4ELi4ELi1ENST_IJLi8ELi2EEEES1W_NST_IJLi8ELi1ELi1ELi2EEEENST_IJLi2ELi1ELi128ELi1EEEENST_IJLi1ELi2ELi0ELi3EEEES1Z_NST_IJLi4ELi1ELi1ELi2EEEES1Z_NST_IJLi1ELi1ELi1ELi2EEEES1X_S1Y_S1Z_S1Z_S20_S1Z_S21_NST_IJLi0ELi1ELi2ELi3ELi4ELi5EEEELi5ELi4EEEDF16_NS5_IJPKDF16_EEEDF16_S8_S8_S9_NSB_INS5_IJSE_SG_SI_SI_SG_SG_SK_SK_SG_SN_SN_SP_SP_SR_SG_SG_NSQ_INS5_IJiNS_17integral_constantIiLi128EEEEEELb0EEENSF_INS27_IiLi2EEEEEEEENS5_IJSU_SV_SW_SX_SY_SZ_S10_S11_S12_S13_S14_S15_S16_S17_S18_NST_IJLi19EEEES1G_NST_IJLi20EEEEEEENS5_IJS1A_SZ_S10_S11_S12_S1B_S1C_S1D_S1E_S15_S16_S18_S17_S1F_S1G_NST_IJLi22EEEENST_IJLi23ELi24EEEENST_IJLi25EEEEEEENST_IJLi22ELi23ELi24ELi25EEEElEENSB_INS5_IJSR_SP_SP_SR_SG_SG_S2A_S2C_EEENS5_IJSU_SV_SW_SY_SX_SZ_S11_S10_EEENS5_IJS1M_SX_SY_S1N_S11_S12_NST_IJLi9ELi10EEEENST_IJLi11EEEEEEENST_IJLi8ELi9ELi10ELi11EEEElEENS5_IJNSB_INS5_IJSK_SP_SP_NSQ_INS5_IJiS2B_NS27_IiLi64EEEEEELb0EEES2W_EEENS5_IJSU_SV_SW_SX_SY_EEENS5_IJS1M_SX_SY_NST_IJLi5ELi6ELi7EEEENST_IJLi8ELi9ELi10EEEEEEENST_IJLi5ELi6ELi7ELi8ELi9ELi10EEEElEEEEES33_NS_31BlockToCTileMap_M00_N00_M01_N01ILi128ELi128ES1V_Lb0EEENS1_30ComputePtrOffsetOfStridedBatchILi1ELi1ELi1EvEELb0ELb0EEEvPKT0_S3B_T1_PT2_T3_T4_T5_iT6_T7_T8_T9_T10_T11_ ; -- Begin function _ZN2ck16tensor_operation6device12_GLOBAL__N_137kernel_grouped_conv_fwd_dl_multiple_dINS_32GridwiseGemmDlMultipleD_km_kn_mnILi256EDF16_fNS_5TupleIJDF16_EEEDF16_NS0_12element_wise11PassThroughES8_NS7_7AddReluELNS_25InMemoryDataOperationEnumE0ENS_16TensorDescriptorINS5_IJNS_5EmbedINS5_IJiiiiEEESD_Lb0EEENS_11PassThroughIiEENS_3PadIiiiLb0EEESI_SG_SG_NSC_INS5_IJiiEEESJ_Lb0EEESK_SG_NS_23Merge_v2_magic_divisionINS5_IJiiiEEEEESN_NS_8RightPadIiiLb0EEESP_NS_7UnMergeISJ_Lb0EEESG_EEENS5_IJNS_8SequenceIJLi0EEEENST_IJLi1EEEENST_IJLi2EEEENST_IJLi3EEEENST_IJLi4EEEENST_IJLi5EEEENST_IJLi6EEEENST_IJLi7EEEENST_IJLi8EEEENST_IJLi9ELi11ELi13EEEENST_IJLi10ELi12ELi14EEEENST_IJLi15EEEENST_IJLi16EEEENST_IJLi18EEEENST_IJLi17EEEEEEENS5_IJNST_IJLi1ELi2ELi3ELi4EEEESZ_S10_S11_S12_NST_IJLi9EEEENST_IJLi10ELi11EEEENST_IJLi12ELi13EEEENST_IJLi14EEEES15_S16_S18_S17_NST_IJLi19ELi20EEEENST_IJLi21EEEEEEENST_IJLi19ELi21ELi20EEEElEENSB_INS5_IJSR_SP_SP_SR_SG_EEENS5_IJSU_SV_SW_SY_SX_EEENS5_IJNST_IJLi1ELi2EEEESX_SY_NST_IJLi5ELi6EEEES11_EEENST_IJLi5ELi7ELi6EEEElEENSB_INS5_IJSK_SP_SP_EEENS5_IJSU_SV_SW_EEENS5_IJS1M_SX_SY_EEENST_IJLi3ELi4EEEElEELi128ELi128ELi16ELi2ELi4ELi4ELi1ENST_IJLi8ELi2EEEES1W_NST_IJLi8ELi1ELi1ELi2EEEENST_IJLi2ELi1ELi128ELi1EEEENST_IJLi1ELi2ELi0ELi3EEEES1Z_NST_IJLi4ELi1ELi1ELi2EEEES1Z_NST_IJLi1ELi1ELi1ELi2EEEES1X_S1Y_S1Z_S1Z_S20_S1Z_S21_NST_IJLi0ELi1ELi2ELi3ELi4ELi5EEEELi5ELi4EEEDF16_NS5_IJPKDF16_EEEDF16_S8_S8_S9_NSB_INS5_IJSE_SG_SI_SI_SG_SG_SK_SK_SG_SN_SN_SP_SP_SR_SG_SG_NSQ_INS5_IJiNS_17integral_constantIiLi128EEEEEELb0EEENSF_INS27_IiLi2EEEEEEEENS5_IJSU_SV_SW_SX_SY_SZ_S10_S11_S12_S13_S14_S15_S16_S17_S18_NST_IJLi19EEEES1G_NST_IJLi20EEEEEEENS5_IJS1A_SZ_S10_S11_S12_S1B_S1C_S1D_S1E_S15_S16_S18_S17_S1F_S1G_NST_IJLi22EEEENST_IJLi23ELi24EEEENST_IJLi25EEEEEEENST_IJLi22ELi23ELi24ELi25EEEElEENSB_INS5_IJSR_SP_SP_SR_SG_SG_S2A_S2C_EEENS5_IJSU_SV_SW_SY_SX_SZ_S11_S10_EEENS5_IJS1M_SX_SY_S1N_S11_S12_NST_IJLi9ELi10EEEENST_IJLi11EEEEEEENST_IJLi8ELi9ELi10ELi11EEEElEENS5_IJNSB_INS5_IJSK_SP_SP_NSQ_INS5_IJiS2B_NS27_IiLi64EEEEEELb0EEES2W_EEENS5_IJSU_SV_SW_SX_SY_EEENS5_IJS1M_SX_SY_NST_IJLi5ELi6ELi7EEEENST_IJLi8ELi9ELi10EEEEEEENST_IJLi5ELi6ELi7ELi8ELi9ELi10EEEElEEEEES33_NS_31BlockToCTileMap_M00_N00_M01_N01ILi128ELi128ES1V_Lb0EEENS1_30ComputePtrOffsetOfStridedBatchILi1ELi1ELi1EvEELb0ELb0EEEvPKT0_S3B_T1_PT2_T3_T4_T5_iT6_T7_T8_T9_T10_T11_
	.p2align	8
	.type	_ZN2ck16tensor_operation6device12_GLOBAL__N_137kernel_grouped_conv_fwd_dl_multiple_dINS_32GridwiseGemmDlMultipleD_km_kn_mnILi256EDF16_fNS_5TupleIJDF16_EEEDF16_NS0_12element_wise11PassThroughES8_NS7_7AddReluELNS_25InMemoryDataOperationEnumE0ENS_16TensorDescriptorINS5_IJNS_5EmbedINS5_IJiiiiEEESD_Lb0EEENS_11PassThroughIiEENS_3PadIiiiLb0EEESI_SG_SG_NSC_INS5_IJiiEEESJ_Lb0EEESK_SG_NS_23Merge_v2_magic_divisionINS5_IJiiiEEEEESN_NS_8RightPadIiiLb0EEESP_NS_7UnMergeISJ_Lb0EEESG_EEENS5_IJNS_8SequenceIJLi0EEEENST_IJLi1EEEENST_IJLi2EEEENST_IJLi3EEEENST_IJLi4EEEENST_IJLi5EEEENST_IJLi6EEEENST_IJLi7EEEENST_IJLi8EEEENST_IJLi9ELi11ELi13EEEENST_IJLi10ELi12ELi14EEEENST_IJLi15EEEENST_IJLi16EEEENST_IJLi18EEEENST_IJLi17EEEEEEENS5_IJNST_IJLi1ELi2ELi3ELi4EEEESZ_S10_S11_S12_NST_IJLi9EEEENST_IJLi10ELi11EEEENST_IJLi12ELi13EEEENST_IJLi14EEEES15_S16_S18_S17_NST_IJLi19ELi20EEEENST_IJLi21EEEEEEENST_IJLi19ELi21ELi20EEEElEENSB_INS5_IJSR_SP_SP_SR_SG_EEENS5_IJSU_SV_SW_SY_SX_EEENS5_IJNST_IJLi1ELi2EEEESX_SY_NST_IJLi5ELi6EEEES11_EEENST_IJLi5ELi7ELi6EEEElEENSB_INS5_IJSK_SP_SP_EEENS5_IJSU_SV_SW_EEENS5_IJS1M_SX_SY_EEENST_IJLi3ELi4EEEElEELi128ELi128ELi16ELi2ELi4ELi4ELi1ENST_IJLi8ELi2EEEES1W_NST_IJLi8ELi1ELi1ELi2EEEENST_IJLi2ELi1ELi128ELi1EEEENST_IJLi1ELi2ELi0ELi3EEEES1Z_NST_IJLi4ELi1ELi1ELi2EEEES1Z_NST_IJLi1ELi1ELi1ELi2EEEES1X_S1Y_S1Z_S1Z_S20_S1Z_S21_NST_IJLi0ELi1ELi2ELi3ELi4ELi5EEEELi5ELi4EEEDF16_NS5_IJPKDF16_EEEDF16_S8_S8_S9_NSB_INS5_IJSE_SG_SI_SI_SG_SG_SK_SK_SG_SN_SN_SP_SP_SR_SG_SG_NSQ_INS5_IJiNS_17integral_constantIiLi128EEEEEELb0EEENSF_INS27_IiLi2EEEEEEEENS5_IJSU_SV_SW_SX_SY_SZ_S10_S11_S12_S13_S14_S15_S16_S17_S18_NST_IJLi19EEEES1G_NST_IJLi20EEEEEEENS5_IJS1A_SZ_S10_S11_S12_S1B_S1C_S1D_S1E_S15_S16_S18_S17_S1F_S1G_NST_IJLi22EEEENST_IJLi23ELi24EEEENST_IJLi25EEEEEEENST_IJLi22ELi23ELi24ELi25EEEElEENSB_INS5_IJSR_SP_SP_SR_SG_SG_S2A_S2C_EEENS5_IJSU_SV_SW_SY_SX_SZ_S11_S10_EEENS5_IJS1M_SX_SY_S1N_S11_S12_NST_IJLi9ELi10EEEENST_IJLi11EEEEEEENST_IJLi8ELi9ELi10ELi11EEEElEENS5_IJNSB_INS5_IJSK_SP_SP_NSQ_INS5_IJiS2B_NS27_IiLi64EEEEEELb0EEES2W_EEENS5_IJSU_SV_SW_SX_SY_EEENS5_IJS1M_SX_SY_NST_IJLi5ELi6ELi7EEEENST_IJLi8ELi9ELi10EEEEEEENST_IJLi5ELi6ELi7ELi8ELi9ELi10EEEElEEEEES33_NS_31BlockToCTileMap_M00_N00_M01_N01ILi128ELi128ES1V_Lb0EEENS1_30ComputePtrOffsetOfStridedBatchILi1ELi1ELi1EvEELb0ELb0EEEvPKT0_S3B_T1_PT2_T3_T4_T5_iT6_T7_T8_T9_T10_T11_,@function
_ZN2ck16tensor_operation6device12_GLOBAL__N_137kernel_grouped_conv_fwd_dl_multiple_dINS_32GridwiseGemmDlMultipleD_km_kn_mnILi256EDF16_fNS_5TupleIJDF16_EEEDF16_NS0_12element_wise11PassThroughES8_NS7_7AddReluELNS_25InMemoryDataOperationEnumE0ENS_16TensorDescriptorINS5_IJNS_5EmbedINS5_IJiiiiEEESD_Lb0EEENS_11PassThroughIiEENS_3PadIiiiLb0EEESI_SG_SG_NSC_INS5_IJiiEEESJ_Lb0EEESK_SG_NS_23Merge_v2_magic_divisionINS5_IJiiiEEEEESN_NS_8RightPadIiiLb0EEESP_NS_7UnMergeISJ_Lb0EEESG_EEENS5_IJNS_8SequenceIJLi0EEEENST_IJLi1EEEENST_IJLi2EEEENST_IJLi3EEEENST_IJLi4EEEENST_IJLi5EEEENST_IJLi6EEEENST_IJLi7EEEENST_IJLi8EEEENST_IJLi9ELi11ELi13EEEENST_IJLi10ELi12ELi14EEEENST_IJLi15EEEENST_IJLi16EEEENST_IJLi18EEEENST_IJLi17EEEEEEENS5_IJNST_IJLi1ELi2ELi3ELi4EEEESZ_S10_S11_S12_NST_IJLi9EEEENST_IJLi10ELi11EEEENST_IJLi12ELi13EEEENST_IJLi14EEEES15_S16_S18_S17_NST_IJLi19ELi20EEEENST_IJLi21EEEEEEENST_IJLi19ELi21ELi20EEEElEENSB_INS5_IJSR_SP_SP_SR_SG_EEENS5_IJSU_SV_SW_SY_SX_EEENS5_IJNST_IJLi1ELi2EEEESX_SY_NST_IJLi5ELi6EEEES11_EEENST_IJLi5ELi7ELi6EEEElEENSB_INS5_IJSK_SP_SP_EEENS5_IJSU_SV_SW_EEENS5_IJS1M_SX_SY_EEENST_IJLi3ELi4EEEElEELi128ELi128ELi16ELi2ELi4ELi4ELi1ENST_IJLi8ELi2EEEES1W_NST_IJLi8ELi1ELi1ELi2EEEENST_IJLi2ELi1ELi128ELi1EEEENST_IJLi1ELi2ELi0ELi3EEEES1Z_NST_IJLi4ELi1ELi1ELi2EEEES1Z_NST_IJLi1ELi1ELi1ELi2EEEES1X_S1Y_S1Z_S1Z_S20_S1Z_S21_NST_IJLi0ELi1ELi2ELi3ELi4ELi5EEEELi5ELi4EEEDF16_NS5_IJPKDF16_EEEDF16_S8_S8_S9_NSB_INS5_IJSE_SG_SI_SI_SG_SG_SK_SK_SG_SN_SN_SP_SP_SR_SG_SG_NSQ_INS5_IJiNS_17integral_constantIiLi128EEEEEELb0EEENSF_INS27_IiLi2EEEEEEEENS5_IJSU_SV_SW_SX_SY_SZ_S10_S11_S12_S13_S14_S15_S16_S17_S18_NST_IJLi19EEEES1G_NST_IJLi20EEEEEEENS5_IJS1A_SZ_S10_S11_S12_S1B_S1C_S1D_S1E_S15_S16_S18_S17_S1F_S1G_NST_IJLi22EEEENST_IJLi23ELi24EEEENST_IJLi25EEEEEEENST_IJLi22ELi23ELi24ELi25EEEElEENSB_INS5_IJSR_SP_SP_SR_SG_SG_S2A_S2C_EEENS5_IJSU_SV_SW_SY_SX_SZ_S11_S10_EEENS5_IJS1M_SX_SY_S1N_S11_S12_NST_IJLi9ELi10EEEENST_IJLi11EEEEEEENST_IJLi8ELi9ELi10ELi11EEEElEENS5_IJNSB_INS5_IJSK_SP_SP_NSQ_INS5_IJiS2B_NS27_IiLi64EEEEEELb0EEES2W_EEENS5_IJSU_SV_SW_SX_SY_EEENS5_IJS1M_SX_SY_NST_IJLi5ELi6ELi7EEEENST_IJLi8ELi9ELi10EEEEEEENST_IJLi5ELi6ELi7ELi8ELi9ELi10EEEElEEEEES33_NS_31BlockToCTileMap_M00_N00_M01_N01ILi128ELi128ES1V_Lb0EEENS1_30ComputePtrOffsetOfStridedBatchILi1ELi1ELi1EvEELb0ELb0EEEvPKT0_S3B_T1_PT2_T3_T4_T5_iT6_T7_T8_T9_T10_T11_: ; @_ZN2ck16tensor_operation6device12_GLOBAL__N_137kernel_grouped_conv_fwd_dl_multiple_dINS_32GridwiseGemmDlMultipleD_km_kn_mnILi256EDF16_fNS_5TupleIJDF16_EEEDF16_NS0_12element_wise11PassThroughES8_NS7_7AddReluELNS_25InMemoryDataOperationEnumE0ENS_16TensorDescriptorINS5_IJNS_5EmbedINS5_IJiiiiEEESD_Lb0EEENS_11PassThroughIiEENS_3PadIiiiLb0EEESI_SG_SG_NSC_INS5_IJiiEEESJ_Lb0EEESK_SG_NS_23Merge_v2_magic_divisionINS5_IJiiiEEEEESN_NS_8RightPadIiiLb0EEESP_NS_7UnMergeISJ_Lb0EEESG_EEENS5_IJNS_8SequenceIJLi0EEEENST_IJLi1EEEENST_IJLi2EEEENST_IJLi3EEEENST_IJLi4EEEENST_IJLi5EEEENST_IJLi6EEEENST_IJLi7EEEENST_IJLi8EEEENST_IJLi9ELi11ELi13EEEENST_IJLi10ELi12ELi14EEEENST_IJLi15EEEENST_IJLi16EEEENST_IJLi18EEEENST_IJLi17EEEEEEENS5_IJNST_IJLi1ELi2ELi3ELi4EEEESZ_S10_S11_S12_NST_IJLi9EEEENST_IJLi10ELi11EEEENST_IJLi12ELi13EEEENST_IJLi14EEEES15_S16_S18_S17_NST_IJLi19ELi20EEEENST_IJLi21EEEEEEENST_IJLi19ELi21ELi20EEEElEENSB_INS5_IJSR_SP_SP_SR_SG_EEENS5_IJSU_SV_SW_SY_SX_EEENS5_IJNST_IJLi1ELi2EEEESX_SY_NST_IJLi5ELi6EEEES11_EEENST_IJLi5ELi7ELi6EEEElEENSB_INS5_IJSK_SP_SP_EEENS5_IJSU_SV_SW_EEENS5_IJS1M_SX_SY_EEENST_IJLi3ELi4EEEElEELi128ELi128ELi16ELi2ELi4ELi4ELi1ENST_IJLi8ELi2EEEES1W_NST_IJLi8ELi1ELi1ELi2EEEENST_IJLi2ELi1ELi128ELi1EEEENST_IJLi1ELi2ELi0ELi3EEEES1Z_NST_IJLi4ELi1ELi1ELi2EEEES1Z_NST_IJLi1ELi1ELi1ELi2EEEES1X_S1Y_S1Z_S1Z_S20_S1Z_S21_NST_IJLi0ELi1ELi2ELi3ELi4ELi5EEEELi5ELi4EEEDF16_NS5_IJPKDF16_EEEDF16_S8_S8_S9_NSB_INS5_IJSE_SG_SI_SI_SG_SG_SK_SK_SG_SN_SN_SP_SP_SR_SG_SG_NSQ_INS5_IJiNS_17integral_constantIiLi128EEEEEELb0EEENSF_INS27_IiLi2EEEEEEEENS5_IJSU_SV_SW_SX_SY_SZ_S10_S11_S12_S13_S14_S15_S16_S17_S18_NST_IJLi19EEEES1G_NST_IJLi20EEEEEEENS5_IJS1A_SZ_S10_S11_S12_S1B_S1C_S1D_S1E_S15_S16_S18_S17_S1F_S1G_NST_IJLi22EEEENST_IJLi23ELi24EEEENST_IJLi25EEEEEEENST_IJLi22ELi23ELi24ELi25EEEElEENSB_INS5_IJSR_SP_SP_SR_SG_SG_S2A_S2C_EEENS5_IJSU_SV_SW_SY_SX_SZ_S11_S10_EEENS5_IJS1M_SX_SY_S1N_S11_S12_NST_IJLi9ELi10EEEENST_IJLi11EEEEEEENST_IJLi8ELi9ELi10ELi11EEEElEENS5_IJNSB_INS5_IJSK_SP_SP_NSQ_INS5_IJiS2B_NS27_IiLi64EEEEEELb0EEES2W_EEENS5_IJSU_SV_SW_SX_SY_EEENS5_IJS1M_SX_SY_NST_IJLi5ELi6ELi7EEEENST_IJLi8ELi9ELi10EEEEEEENST_IJLi5ELi6ELi7ELi8ELi9ELi10EEEElEEEEES33_NS_31BlockToCTileMap_M00_N00_M01_N01ILi128ELi128ES1V_Lb0EEENS1_30ComputePtrOffsetOfStridedBatchILi1ELi1ELi1EvEELb0ELb0EEEvPKT0_S3B_T1_PT2_T3_T4_T5_iT6_T7_T8_T9_T10_T11_
; %bb.0:
	s_load_dwordx8 s[4:11], s[0:1], 0x0
	s_load_dword s12, s[0:1], 0x24
	s_load_dwordx4 s[40:43], s[0:1], 0x38
	s_load_dword s50, s[0:1], 0x50
	s_load_dwordx4 s[28:31], s[0:1], 0x4c
	;; [unrolled: 2-line block ×3, first 2 shown]
	s_load_dwordx2 s[48:49], s[0:1], 0xc8
	s_waitcnt lgkmcnt(0)
	s_abs_i32 s13, s12
	v_cvt_f32_u32_e32 v1, s13
	s_load_dword s54, s[0:1], 0x100
	s_load_dword s55, s[0:1], 0x128
	;; [unrolled: 1-line block ×7, first 2 shown]
	s_sub_i32 s15, 0, s13
	s_load_dword s52, s[0:1], 0x188
	s_load_dwordx2 s[34:35], s[0:1], 0x198
	s_load_dword s29, s[0:1], 0x1a4
	s_load_dword s31, s[0:1], 0x1b0
	;; [unrolled: 1-line block ×3, first 2 shown]
	v_rcp_iflag_f32_e32 v1, v1
	v_lshlrev_b32_e32 v2, 3, v0
	s_waitcnt lgkmcnt(0)
	s_xor_b32 s12, s14, s12
	s_abs_i32 s14, s14
	v_mul_f32_e32 v1, 0x4f7ffffe, v1
	v_cvt_u32_f32_e32 v1, v1
	s_ashr_i32 s12, s12, 31
	v_and_b32_e32 v23, 8, v2
	v_mul_lo_u32 v24, s54, v23
	v_readfirstlane_b32 s16, v1
	s_mul_i32 s15, s15, s16
	s_mul_hi_u32 s15, s16, s15
	s_add_i32 s16, s16, s15
	s_mul_hi_u32 s15, s14, s16
	s_mul_i32 s16, s15, s13
	s_sub_i32 s14, s14, s16
	s_add_i32 s16, s15, 1
	s_sub_i32 s17, s14, s13
	s_cmp_ge_u32 s14, s13
	s_cselect_b32 s15, s16, s15
	s_cselect_b32 s14, s17, s14
	s_add_i32 s16, s15, 1
	s_cmp_ge_u32 s14, s13
	s_cselect_b32 s13, s16, s15
	s_xor_b32 s13, s13, s12
	s_sub_i32 s56, s13, s12
	s_abs_i32 s57, s56
	v_cvt_f32_u32_e32 v1, s57
	s_load_dword s60, s[0:1], 0x244
	s_load_dword s61, s[0:1], 0x254
	s_load_dwordx8 s[12:19], s[0:1], 0x264
	s_waitcnt lgkmcnt(0)
	s_xor_b32 s13, s2, s56
	s_sub_i32 s56, 0, s57
	v_rcp_iflag_f32_e32 v1, v1
	s_abs_i32 s15, s2
	s_ashr_i32 s13, s13, 31
	s_load_dwordx4 s[44:47], s[0:1], 0x288
	s_load_dwordx8 s[20:27], s[0:1], 0x2a0
	v_mul_f32_e32 v1, 0x4f7ffffe, v1
	v_cvt_u32_f32_e32 v1, v1
	v_mul_hi_u32 v2, v24, s49
	v_add_u32_e32 v2, v24, v2
	v_mul_lo_u32 v22, s3, v23
	v_readfirstlane_b32 s58, v1
	s_mul_i32 s56, s56, s58
	s_mul_hi_u32 s56, s58, s56
	s_add_i32 s58, s58, s56
	s_mul_hi_u32 s56, s15, s58
	s_mul_i32 s58, s56, s57
	s_sub_i32 s15, s15, s58
	s_add_i32 s58, s56, 1
	s_sub_i32 s59, s15, s57
	s_cmp_ge_u32 s15, s57
	s_cselect_b32 s56, s58, s56
	s_cselect_b32 s15, s59, s15
	s_add_i32 s58, s56, 1
	s_cmp_ge_u32 s15, s57
	s_cselect_b32 s15, s58, s56
	s_xor_b32 s15, s15, s13
	s_sub_i32 s13, s15, s13
	s_ashr_i32 s15, s13, 31
	s_waitcnt lgkmcnt(0)
	s_mul_i32 s56, s20, s15
	s_mul_hi_u32 s57, s20, s13
	s_add_i32 s56, s57, s56
	s_mul_i32 s21, s21, s13
	s_add_i32 s21, s56, s21
	s_mul_i32 s56, s22, s15
	s_mul_hi_u32 s57, s22, s13
	s_add_i32 s56, s57, s56
	s_mul_i32 s23, s23, s13
	s_add_i32 s23, s56, s23
	;; [unrolled: 5-line block ×4, first 2 shown]
	s_mul_i32 s24, s24, s13
	s_lshl_b64 s[24:25], s[24:25], 1
	s_mul_i32 s20, s20, s13
	s_add_u32 s24, s8, s24
	s_mul_i32 s22, s22, s13
	s_mul_i32 s26, s26, s13
	s_addc_u32 s13, s9, s25
	s_lshl_b64 s[8:9], s[20:21], 1
	s_add_u32 s8, s4, s8
	s_addc_u32 s9, s5, s9
	s_lshl_b64 s[4:5], s[22:23], 1
	s_add_u32 s4, s6, s4
	;; [unrolled: 3-line block ×3, first 2 shown]
	s_mul_hi_u32 s6, s19, s2
	s_addc_u32 s15, s11, s7
	s_add_i32 s6, s2, s6
	s_lshr_b32 s6, s6, s47
	s_mul_hi_u32 s7, s6, s18
	s_add_i32 s7, s6, s7
	s_lshr_b32 s7, s7, s46
	s_mul_hi_u32 s10, s7, s17
	s_add_i32 s10, s7, s10
	s_load_dwordx4 s[56:59], s[0:1], 0x260
	s_lshr_b32 s10, s10, s45
	s_mul_i32 s11, s10, s12
	s_mul_i32 s12, s6, s14
	s_sub_i32 s2, s2, s12
	s_mul_hi_u32 s12, s10, s16
	s_add_i32 s12, s10, s12
	s_lshr_b32 s12, s12, s44
	s_waitcnt lgkmcnt(0)
	s_mul_i32 s12, s12, s56
	s_sub_i32 s11, s7, s11
	s_mul_i32 s7, s7, s58
	s_sub_i32 s10, s10, s12
	s_sub_i32 s6, s6, s7
	s_mul_i32 s10, s10, s60
	s_mul_i32 s11, s11, s61
	s_add_i32 s10, s6, s10
	s_load_dwordx2 s[6:7], s[0:1], 0xac
	s_load_dwordx2 s[22:23], s[0:1], 0xbc
	;; [unrolled: 1-line block ×3, first 2 shown]
	s_add_i32 s2, s2, s11
	s_load_dwordx4 s[16:19], s[0:1], 0x94
	s_load_dword s11, s[0:1], 0xa4
	s_load_dwordx2 s[44:45], s[0:1], 0x84
	v_lshrrev_b32_e32 v1, 1, v0
	s_lshl_b32 s12, s10, 7
	v_or_b32_e32 v25, s12, v1
	s_waitcnt lgkmcnt(0)
	v_lshrrev_b32_e32 v2, s27, v2
	v_mul_hi_u32 v3, v25, s11
	v_mul_hi_u32 v4, v2, s48
	v_add_u32_e32 v3, v25, v3
	v_add_u32_e32 v4, v2, v4
	v_lshrrev_b32_e32 v3, s7, v3
	v_lshrrev_b32_e32 v10, s26, v4
	v_mul_hi_u32 v4, v3, s19
	v_add_u32_e32 v4, v3, v4
	v_lshrrev_b32_e32 v4, s6, v4
	s_load_dwordx2 s[6:7], s[0:1], 0x74
	v_mul_lo_u32 v5, v4, s16
	v_mul_lo_u32 v6, v10, s22
	v_sub_u32_e32 v5, v3, v5
	v_mul_lo_u32 v3, v3, s17
	v_sub_u32_e32 v6, v2, v6
	;; [unrolled: 2-line block ×3, first 2 shown]
	v_mul_lo_u32 v2, v6, s44
	v_mad_u64_u32 v[18:19], s[10:11], v3, s45, v[2:3]
	s_waitcnt lgkmcnt(0)
	v_mul_lo_u32 v2, v10, s6
	v_subrev_u32_e32 v3, s51, v18
	v_mad_u64_u32 v[20:21], s[10:11], v5, s7, v[2:3]
	v_lshl_add_u32 v21, s54, 2, v24
	v_sub_u32_e32 v8, v24, v7
	v_subrev_u32_e32 v2, s50, v20
	v_mul_hi_u32 v7, v21, s49
	v_mul_lo_u32 v5, v2, s41
	v_mul_lo_u32 v2, v8, s43
	v_add_u32_e32 v7, v21, v7
	v_mul_lo_u32 v4, v4, s40
	v_mad_u64_u32 v[2:3], s[10:11], v3, s42, v[2:3]
	v_lshrrev_b32_e32 v12, s27, v7
	v_add3_u32 v11, v2, v4, v5
	v_mul_hi_u32 v7, s48, v12
	s_lshl_b32 s10, s55, 1
	s_and_b32 s9, s9, 0xffff
	s_mov_b32 s11, 0x20000
	v_lshlrev_b32_e32 v2, 1, v11
	v_mad_u64_u32 v[8:9], s[16:17], v12, s23, v[8:9]
	v_add_u32_e32 v7, v12, v7
	buffer_load_dwordx4 v[2:5], v2, s[8:11], 0 offen
	v_lshrrev_b32_e32 v9, s26, v7
	v_mad_u64_u32 v[6:7], s[16:17], v9, s22, v[6:7]
	v_sub_u32_e32 v6, v12, v6
	v_sub_u32_e32 v7, v9, v10
	;; [unrolled: 1-line block ×3, first 2 shown]
	v_mul_lo_u32 v26, v6, s44
	v_mul_lo_u32 v27, v7, s6
	;; [unrolled: 1-line block ×5, first 2 shown]
	s_lshl_b32 s14, s2, 7
	v_add3_u32 v6, v6, v8, v7
	v_or_b32_e32 v19, s14, v1
	v_add_lshl_u32 v6, v6, v11, 1
	buffer_load_dwordx4 v[6:9], v6, s[8:11], 0 offen
	v_mad_u64_u32 v[14:15], s[6:7], v19, s53, v[22:23]
	s_lshl_b32 s6, s52, 1
	s_and_b32 s5, s5, 0xffff
	s_mov_b32 s7, s11
	v_lshlrev_b32_e32 v10, 1, v14
	s_nop 0
	buffer_load_dwordx4 v[10:13], v10, s[4:7], 0 offen
	s_lshl_b32 s8, s3, 2
	v_add_lshl_u32 v14, v14, s8, 1
	buffer_load_dwordx4 v[14:17], v14, s[4:7], 0 offen
	s_load_dword s2, s[0:1], 0xe4
	s_load_dword s9, s[0:1], 0xf0
	s_sub_i32 s10, s36, s38
	v_cmp_gt_i32_e64 s[6:7], s10, v18
	v_cmp_le_i32_e64 s[4:5], s51, v18
	s_sub_i32 s16, s28, s30
	s_waitcnt lgkmcnt(0)
	v_cmp_gt_i32_e32 vcc, s9, v24
	s_and_b64 s[6:7], s[6:7], vcc
	v_lshrrev_b32_e32 v28, 5, v0
	v_lshlrev_b32_e32 v30, 1, v0
	s_and_b64 s[6:7], s[6:7], s[4:5]
	v_cmp_le_i32_e32 vcc, s50, v20
	v_cmp_gt_i32_e64 s[4:5], s16, v20
	v_lshlrev_b32_e32 v29, 6, v28
	v_and_b32_e32 v31, 0x1f8, v30
	s_and_b64 s[4:5], vcc, s[4:5]
	v_sub_u32_e32 v29, v31, v29
	v_lshlrev_b32_e32 v0, 2, v0
	v_cmp_gt_i32_e64 s[2:3], s2, v25
	s_and_b64 s[4:5], s[6:7], s[4:5]
	v_and_or_b32 v64, v0, 4, v29
	v_lshlrev_b32_e32 v0, 3, v28
	s_and_b64 vcc, s[2:3], s[4:5]
	v_and_or_b32 v65, v30, 4, v0
	v_lshlrev_b32_e32 v1, 2, v1
	v_lshl_or_b32 v1, v23, 9, v1
	v_lshlrev_b32_e32 v66, 2, v65
	v_lshlrev_b32_e32 v67, 2, v64
	v_mov_b32_e32 v62, 0
	v_mov_b32_e32 v63, 0
	;; [unrolled: 1-line block ×26, first 2 shown]
	s_waitcnt vmcnt(3)
	v_cndmask_b32_e32 v0, 0, v5, vcc
	v_add_u32_e32 v5, v18, v26
	v_cndmask_b32_e32 v4, 0, v4, vcc
	v_cndmask_b32_e32 v3, 0, v3, vcc
	;; [unrolled: 1-line block ×3, first 2 shown]
	v_cmp_gt_i32_e32 vcc, s9, v21
	v_cmp_gt_i32_e64 s[6:7], s10, v5
	v_add_u32_e32 v18, v20, v27
	v_cmp_le_i32_e64 s[4:5], s51, v5
	s_and_b64 s[6:7], s[6:7], vcc
	s_and_b64 s[6:7], s[6:7], s[4:5]
	v_cmp_le_i32_e32 vcc, s50, v18
	v_cmp_gt_i32_e64 s[4:5], s16, v18
	s_and_b64 s[4:5], vcc, s[4:5]
	s_and_b64 s[4:5], s[6:7], s[4:5]
	s_and_b64 vcc, s[2:3], s[4:5]
	s_waitcnt vmcnt(2)
	v_cndmask_b32_e32 v5, 0, v9, vcc
	v_cndmask_b32_e32 v8, 0, v8, vcc
	;; [unrolled: 1-line block ×4, first 2 shown]
	v_cmp_gt_i32_e32 vcc, s37, v22
	v_cmp_gt_i32_e64 s[2:3], s39, v19
	s_and_b64 vcc, vcc, s[2:3]
	s_waitcnt vmcnt(1)
	v_cndmask_b32_e32 v9, 0, v13, vcc
	v_add_u32_e32 v13, s8, v22
	v_cndmask_b32_e32 v12, 0, v12, vcc
	v_cndmask_b32_e32 v11, 0, v11, vcc
	v_cndmask_b32_e32 v10, 0, v10, vcc
	v_cmp_gt_i32_e32 vcc, s37, v13
	s_and_b64 vcc, vcc, s[2:3]
	v_mov_b32_e32 v26, 0
	s_waitcnt vmcnt(0)
	v_cndmask_b32_e32 v13, 0, v17, vcc
	v_cndmask_b32_e32 v16, 0, v16, vcc
	;; [unrolled: 1-line block ×4, first 2 shown]
	ds_write2st64_b32 v1, v2, v3 offset1:2
	ds_write2st64_b32 v1, v4, v0 offset0:4 offset1:6
	ds_write2st64_b32 v1, v6, v7 offset0:8 offset1:10
	;; [unrolled: 1-line block ×7, first 2 shown]
	s_waitcnt lgkmcnt(0)
	s_barrier
	ds_read_b128 v[0:3], v66
	ds_read_b128 v[4:7], v67 offset:16384
	ds_read_b128 v[68:71], v67 offset:16640
	;; [unrolled: 1-line block ×3, first 2 shown]
	v_mov_b32_e32 v27, 0
	v_mov_b32_e32 v38, 0
	;; [unrolled: 1-line block ×5, first 2 shown]
	s_waitcnt lgkmcnt(2)
	v_dot2c_f32_f16_e32 v62, v0, v4
	v_dot2c_f32_f16_e32 v63, v0, v5
	;; [unrolled: 1-line block ×16, first 2 shown]
	s_waitcnt lgkmcnt(1)
	v_dot2c_f32_f16_e32 v58, v0, v68
	v_dot2c_f32_f16_e32 v59, v0, v69
	v_dot2c_f32_f16_e32 v56, v0, v70
	v_dot2c_f32_f16_e32 v57, v0, v71
	v_dot2c_f32_f16_e32 v54, v1, v68
	v_dot2c_f32_f16_e32 v55, v1, v69
	v_dot2c_f32_f16_e32 v52, v1, v70
	v_dot2c_f32_f16_e32 v53, v1, v71
	v_dot2c_f32_f16_e32 v44, v2, v68
	v_dot2c_f32_f16_e32 v45, v2, v69
	v_dot2c_f32_f16_e32 v40, v2, v70
	v_dot2c_f32_f16_e32 v41, v2, v71
	v_dot2c_f32_f16_e32 v38, v3, v68
	v_dot2c_f32_f16_e32 v39, v3, v69
	v_dot2c_f32_f16_e32 v36, v3, v70
	v_dot2c_f32_f16_e32 v37, v3, v71
	v_mov_b32_e32 v2, 0
	v_mov_b32_e32 v3, 0
	;; [unrolled: 1-line block ×17, first 2 shown]
	s_waitcnt lgkmcnt(0)
	v_dot2c_f32_f16_e32 v2, v72, v4
	v_dot2c_f32_f16_e32 v3, v72, v5
	;; [unrolled: 1-line block ×16, first 2 shown]
	v_mov_b32_e32 v6, 0
	v_mov_b32_e32 v7, 0
	;; [unrolled: 1-line block ×15, first 2 shown]
	ds_read_b128 v[76:79], v66 offset:512
	ds_read_b128 v[80:83], v67 offset:16896
	v_dot2c_f32_f16_e32 v6, v72, v68
	v_dot2c_f32_f16_e32 v7, v72, v69
	;; [unrolled: 1-line block ×16, first 2 shown]
	ds_read_b128 v[68:71], v67 offset:17152
	ds_read_b128 v[72:75], v66 offset:768
	s_waitcnt lgkmcnt(2)
	v_dot2c_f32_f16_e32 v62, v76, v80
	v_dot2c_f32_f16_e32 v63, v76, v81
	;; [unrolled: 1-line block ×16, first 2 shown]
	s_waitcnt lgkmcnt(1)
	v_dot2c_f32_f16_e32 v58, v76, v68
	v_dot2c_f32_f16_e32 v59, v76, v69
	;; [unrolled: 1-line block ×16, first 2 shown]
	ds_read_b128 v[76:79], v66 offset:1024
	s_waitcnt lgkmcnt(1)
	v_dot2c_f32_f16_e32 v2, v72, v80
	v_dot2c_f32_f16_e32 v3, v72, v81
	;; [unrolled: 1-line block ×16, first 2 shown]
	ds_read_b128 v[80:83], v67 offset:17408
	v_dot2c_f32_f16_e32 v6, v72, v68
	v_dot2c_f32_f16_e32 v7, v72, v69
	;; [unrolled: 1-line block ×16, first 2 shown]
	ds_read_b128 v[68:71], v67 offset:17664
	ds_read_b128 v[72:75], v66 offset:1280
	s_waitcnt lgkmcnt(2)
	v_dot2c_f32_f16_e32 v62, v76, v80
	v_dot2c_f32_f16_e32 v63, v76, v81
	;; [unrolled: 1-line block ×16, first 2 shown]
	s_waitcnt lgkmcnt(1)
	v_dot2c_f32_f16_e32 v58, v76, v68
	v_dot2c_f32_f16_e32 v59, v76, v69
	;; [unrolled: 1-line block ×16, first 2 shown]
	ds_read_b128 v[76:79], v66 offset:1536
	s_waitcnt lgkmcnt(1)
	v_dot2c_f32_f16_e32 v2, v72, v80
	v_dot2c_f32_f16_e32 v3, v72, v81
	v_dot2c_f32_f16_e32 v0, v72, v82
	v_dot2c_f32_f16_e32 v1, v72, v83
	v_dot2c_f32_f16_e32 v14, v73, v80
	v_dot2c_f32_f16_e32 v15, v73, v81
	v_dot2c_f32_f16_e32 v10, v73, v82
	v_dot2c_f32_f16_e32 v11, v73, v83
	v_dot2c_f32_f16_e32 v20, v74, v80
	v_dot2c_f32_f16_e32 v21, v74, v81
	v_dot2c_f32_f16_e32 v18, v74, v82
	v_dot2c_f32_f16_e32 v19, v74, v83
	v_dot2c_f32_f16_e32 v34, v75, v80
	v_dot2c_f32_f16_e32 v35, v75, v81
	v_dot2c_f32_f16_e32 v30, v75, v82
	v_dot2c_f32_f16_e32 v31, v75, v83
	ds_read_b128 v[80:83], v67 offset:17920
	v_dot2c_f32_f16_e32 v6, v72, v68
	v_dot2c_f32_f16_e32 v7, v72, v69
	;; [unrolled: 1-line block ×16, first 2 shown]
	ds_read_b128 v[68:71], v67 offset:18176
	ds_read_b128 v[72:75], v66 offset:1792
	s_waitcnt lgkmcnt(2)
	v_dot2c_f32_f16_e32 v62, v76, v80
	v_dot2c_f32_f16_e32 v63, v76, v81
	;; [unrolled: 1-line block ×16, first 2 shown]
	s_waitcnt lgkmcnt(1)
	v_dot2c_f32_f16_e32 v58, v76, v68
	v_dot2c_f32_f16_e32 v59, v76, v69
	;; [unrolled: 1-line block ×16, first 2 shown]
	ds_read_b128 v[76:79], v66 offset:2048
	s_waitcnt lgkmcnt(1)
	v_dot2c_f32_f16_e32 v2, v72, v80
	v_dot2c_f32_f16_e32 v3, v72, v81
	;; [unrolled: 1-line block ×16, first 2 shown]
	ds_read_b128 v[80:83], v67 offset:18432
	v_dot2c_f32_f16_e32 v6, v72, v68
	v_dot2c_f32_f16_e32 v7, v72, v69
	;; [unrolled: 1-line block ×16, first 2 shown]
	ds_read_b128 v[68:71], v67 offset:18688
	ds_read_b128 v[72:75], v66 offset:2304
	s_waitcnt lgkmcnt(2)
	v_dot2c_f32_f16_e32 v62, v76, v80
	v_dot2c_f32_f16_e32 v63, v76, v81
	;; [unrolled: 1-line block ×16, first 2 shown]
	s_waitcnt lgkmcnt(1)
	v_dot2c_f32_f16_e32 v58, v76, v68
	v_dot2c_f32_f16_e32 v59, v76, v69
	v_dot2c_f32_f16_e32 v56, v76, v70
	v_dot2c_f32_f16_e32 v57, v76, v71
	v_dot2c_f32_f16_e32 v54, v77, v68
	v_dot2c_f32_f16_e32 v55, v77, v69
	v_dot2c_f32_f16_e32 v52, v77, v70
	v_dot2c_f32_f16_e32 v53, v77, v71
	v_dot2c_f32_f16_e32 v44, v78, v68
	v_dot2c_f32_f16_e32 v45, v78, v69
	v_dot2c_f32_f16_e32 v40, v78, v70
	v_dot2c_f32_f16_e32 v41, v78, v71
	v_dot2c_f32_f16_e32 v38, v79, v68
	v_dot2c_f32_f16_e32 v39, v79, v69
	v_dot2c_f32_f16_e32 v36, v79, v70
	v_dot2c_f32_f16_e32 v37, v79, v71
	ds_read_b128 v[76:79], v66 offset:2560
	s_waitcnt lgkmcnt(1)
	v_dot2c_f32_f16_e32 v2, v72, v80
	v_dot2c_f32_f16_e32 v3, v72, v81
	;; [unrolled: 1-line block ×16, first 2 shown]
	ds_read_b128 v[80:83], v67 offset:18944
	v_dot2c_f32_f16_e32 v6, v72, v68
	v_dot2c_f32_f16_e32 v7, v72, v69
	;; [unrolled: 1-line block ×16, first 2 shown]
	ds_read_b128 v[68:71], v67 offset:19200
	ds_read_b128 v[72:75], v66 offset:2816
	s_waitcnt lgkmcnt(2)
	v_dot2c_f32_f16_e32 v62, v76, v80
	v_dot2c_f32_f16_e32 v63, v76, v81
	;; [unrolled: 1-line block ×16, first 2 shown]
	s_waitcnt lgkmcnt(1)
	v_dot2c_f32_f16_e32 v58, v76, v68
	v_dot2c_f32_f16_e32 v59, v76, v69
	;; [unrolled: 1-line block ×16, first 2 shown]
	ds_read_b128 v[76:79], v66 offset:3072
	s_waitcnt lgkmcnt(1)
	v_dot2c_f32_f16_e32 v2, v72, v80
	v_dot2c_f32_f16_e32 v3, v72, v81
	;; [unrolled: 1-line block ×16, first 2 shown]
	ds_read_b128 v[80:83], v67 offset:19456
	v_dot2c_f32_f16_e32 v6, v72, v68
	v_dot2c_f32_f16_e32 v7, v72, v69
	;; [unrolled: 1-line block ×16, first 2 shown]
	ds_read_b128 v[68:71], v67 offset:19712
	ds_read_b128 v[72:75], v66 offset:3328
	s_waitcnt lgkmcnt(2)
	v_dot2c_f32_f16_e32 v62, v76, v80
	v_dot2c_f32_f16_e32 v63, v76, v81
	;; [unrolled: 1-line block ×16, first 2 shown]
	s_waitcnt lgkmcnt(1)
	v_dot2c_f32_f16_e32 v58, v76, v68
	v_dot2c_f32_f16_e32 v59, v76, v69
	;; [unrolled: 1-line block ×16, first 2 shown]
	ds_read_b128 v[76:79], v66 offset:3584
	s_waitcnt lgkmcnt(1)
	v_dot2c_f32_f16_e32 v2, v72, v80
	v_dot2c_f32_f16_e32 v3, v72, v81
	;; [unrolled: 1-line block ×16, first 2 shown]
	ds_read_b128 v[80:83], v67 offset:19968
	v_dot2c_f32_f16_e32 v6, v72, v68
	v_dot2c_f32_f16_e32 v7, v72, v69
	;; [unrolled: 1-line block ×16, first 2 shown]
	ds_read_b128 v[68:71], v67 offset:20224
	ds_read_b128 v[72:75], v66 offset:3840
	s_waitcnt lgkmcnt(2)
	v_dot2c_f32_f16_e32 v62, v76, v80
	v_dot2c_f32_f16_e32 v63, v76, v81
	;; [unrolled: 1-line block ×16, first 2 shown]
	s_waitcnt lgkmcnt(1)
	v_dot2c_f32_f16_e32 v58, v76, v68
	v_dot2c_f32_f16_e32 v59, v76, v69
	;; [unrolled: 1-line block ×16, first 2 shown]
	ds_read_b128 v[76:79], v66 offset:4096
	s_waitcnt lgkmcnt(1)
	v_dot2c_f32_f16_e32 v2, v72, v80
	v_dot2c_f32_f16_e32 v3, v72, v81
	;; [unrolled: 1-line block ×16, first 2 shown]
	ds_read_b128 v[80:83], v67 offset:20480
	v_dot2c_f32_f16_e32 v6, v72, v68
	v_dot2c_f32_f16_e32 v7, v72, v69
	;; [unrolled: 1-line block ×16, first 2 shown]
	ds_read_b128 v[68:71], v67 offset:20736
	ds_read_b128 v[72:75], v66 offset:4352
	s_waitcnt lgkmcnt(2)
	v_dot2c_f32_f16_e32 v62, v76, v80
	v_dot2c_f32_f16_e32 v63, v76, v81
	v_dot2c_f32_f16_e32 v60, v76, v82
	v_dot2c_f32_f16_e32 v61, v76, v83
	v_dot2c_f32_f16_e32 v50, v77, v80
	v_dot2c_f32_f16_e32 v51, v77, v81
	v_dot2c_f32_f16_e32 v48, v77, v82
	v_dot2c_f32_f16_e32 v49, v77, v83
	v_dot2c_f32_f16_e32 v46, v78, v80
	v_dot2c_f32_f16_e32 v47, v78, v81
	v_dot2c_f32_f16_e32 v42, v78, v82
	v_dot2c_f32_f16_e32 v43, v78, v83
	v_dot2c_f32_f16_e32 v28, v79, v80
	v_dot2c_f32_f16_e32 v29, v79, v81
	v_dot2c_f32_f16_e32 v26, v79, v82
	v_dot2c_f32_f16_e32 v27, v79, v83
	s_waitcnt lgkmcnt(1)
	v_dot2c_f32_f16_e32 v58, v76, v68
	v_dot2c_f32_f16_e32 v59, v76, v69
	;; [unrolled: 1-line block ×16, first 2 shown]
	ds_read_b128 v[76:79], v66 offset:4608
	s_waitcnt lgkmcnt(1)
	v_dot2c_f32_f16_e32 v2, v72, v80
	v_dot2c_f32_f16_e32 v3, v72, v81
	;; [unrolled: 1-line block ×16, first 2 shown]
	ds_read_b128 v[80:83], v67 offset:20992
	v_dot2c_f32_f16_e32 v6, v72, v68
	v_dot2c_f32_f16_e32 v7, v72, v69
	;; [unrolled: 1-line block ×16, first 2 shown]
	ds_read_b128 v[68:71], v67 offset:21248
	ds_read_b128 v[72:75], v66 offset:4864
	s_waitcnt lgkmcnt(2)
	v_dot2c_f32_f16_e32 v62, v76, v80
	v_dot2c_f32_f16_e32 v63, v76, v81
	;; [unrolled: 1-line block ×16, first 2 shown]
	s_waitcnt lgkmcnt(1)
	v_dot2c_f32_f16_e32 v58, v76, v68
	v_dot2c_f32_f16_e32 v59, v76, v69
	v_dot2c_f32_f16_e32 v56, v76, v70
	v_dot2c_f32_f16_e32 v57, v76, v71
	v_dot2c_f32_f16_e32 v54, v77, v68
	v_dot2c_f32_f16_e32 v55, v77, v69
	v_dot2c_f32_f16_e32 v52, v77, v70
	v_dot2c_f32_f16_e32 v53, v77, v71
	v_dot2c_f32_f16_e32 v44, v78, v68
	v_dot2c_f32_f16_e32 v45, v78, v69
	v_dot2c_f32_f16_e32 v40, v78, v70
	v_dot2c_f32_f16_e32 v41, v78, v71
	v_dot2c_f32_f16_e32 v38, v79, v68
	v_dot2c_f32_f16_e32 v39, v79, v69
	v_dot2c_f32_f16_e32 v36, v79, v70
	v_dot2c_f32_f16_e32 v37, v79, v71
	ds_read_b128 v[76:79], v66 offset:5120
	s_waitcnt lgkmcnt(1)
	v_dot2c_f32_f16_e32 v2, v72, v80
	v_dot2c_f32_f16_e32 v3, v72, v81
	;; [unrolled: 1-line block ×16, first 2 shown]
	ds_read_b128 v[80:83], v67 offset:21504
	v_dot2c_f32_f16_e32 v6, v72, v68
	v_dot2c_f32_f16_e32 v7, v72, v69
	;; [unrolled: 1-line block ×16, first 2 shown]
	ds_read_b128 v[68:71], v67 offset:21760
	ds_read_b128 v[72:75], v66 offset:5376
	s_waitcnt lgkmcnt(2)
	v_dot2c_f32_f16_e32 v62, v76, v80
	v_dot2c_f32_f16_e32 v63, v76, v81
	;; [unrolled: 1-line block ×16, first 2 shown]
	s_waitcnt lgkmcnt(1)
	v_dot2c_f32_f16_e32 v58, v76, v68
	v_dot2c_f32_f16_e32 v59, v76, v69
	;; [unrolled: 1-line block ×16, first 2 shown]
	ds_read_b128 v[76:79], v66 offset:5632
	s_waitcnt lgkmcnt(1)
	v_dot2c_f32_f16_e32 v2, v72, v80
	v_dot2c_f32_f16_e32 v3, v72, v81
	;; [unrolled: 1-line block ×16, first 2 shown]
	ds_read_b128 v[80:83], v67 offset:22016
	v_dot2c_f32_f16_e32 v6, v72, v68
	v_dot2c_f32_f16_e32 v7, v72, v69
	;; [unrolled: 1-line block ×16, first 2 shown]
	ds_read_b128 v[68:71], v67 offset:22272
	ds_read_b128 v[72:75], v66 offset:5888
	s_waitcnt lgkmcnt(2)
	v_dot2c_f32_f16_e32 v62, v76, v80
	v_dot2c_f32_f16_e32 v63, v76, v81
	;; [unrolled: 1-line block ×16, first 2 shown]
	s_waitcnt lgkmcnt(1)
	v_dot2c_f32_f16_e32 v58, v76, v68
	v_dot2c_f32_f16_e32 v59, v76, v69
	;; [unrolled: 1-line block ×16, first 2 shown]
	ds_read_b128 v[76:79], v66 offset:6144
	s_waitcnt lgkmcnt(1)
	v_dot2c_f32_f16_e32 v2, v72, v80
	v_dot2c_f32_f16_e32 v3, v72, v81
	;; [unrolled: 1-line block ×16, first 2 shown]
	ds_read_b128 v[80:83], v67 offset:22528
	v_dot2c_f32_f16_e32 v6, v72, v68
	v_dot2c_f32_f16_e32 v7, v72, v69
	;; [unrolled: 1-line block ×16, first 2 shown]
	ds_read_b128 v[68:71], v67 offset:22784
	ds_read_b128 v[72:75], v66 offset:6400
	s_waitcnt lgkmcnt(2)
	v_dot2c_f32_f16_e32 v62, v76, v80
	v_dot2c_f32_f16_e32 v63, v76, v81
	;; [unrolled: 1-line block ×16, first 2 shown]
	s_waitcnt lgkmcnt(1)
	v_dot2c_f32_f16_e32 v58, v76, v68
	v_dot2c_f32_f16_e32 v59, v76, v69
	;; [unrolled: 1-line block ×16, first 2 shown]
	ds_read_b128 v[76:79], v66 offset:6656
	s_waitcnt lgkmcnt(1)
	v_dot2c_f32_f16_e32 v2, v72, v80
	v_dot2c_f32_f16_e32 v3, v72, v81
	v_dot2c_f32_f16_e32 v0, v72, v82
	v_dot2c_f32_f16_e32 v1, v72, v83
	v_dot2c_f32_f16_e32 v14, v73, v80
	v_dot2c_f32_f16_e32 v15, v73, v81
	v_dot2c_f32_f16_e32 v10, v73, v82
	v_dot2c_f32_f16_e32 v11, v73, v83
	v_dot2c_f32_f16_e32 v20, v74, v80
	v_dot2c_f32_f16_e32 v21, v74, v81
	v_dot2c_f32_f16_e32 v18, v74, v82
	v_dot2c_f32_f16_e32 v19, v74, v83
	v_dot2c_f32_f16_e32 v34, v75, v80
	v_dot2c_f32_f16_e32 v35, v75, v81
	v_dot2c_f32_f16_e32 v30, v75, v82
	v_dot2c_f32_f16_e32 v31, v75, v83
	ds_read_b128 v[80:83], v67 offset:23040
	v_dot2c_f32_f16_e32 v6, v72, v68
	v_dot2c_f32_f16_e32 v7, v72, v69
	;; [unrolled: 1-line block ×16, first 2 shown]
	ds_read_b128 v[68:71], v67 offset:23296
	ds_read_b128 v[72:75], v66 offset:6912
	s_waitcnt lgkmcnt(2)
	v_dot2c_f32_f16_e32 v62, v76, v80
	v_dot2c_f32_f16_e32 v63, v76, v81
	;; [unrolled: 1-line block ×16, first 2 shown]
	s_waitcnt lgkmcnt(1)
	v_dot2c_f32_f16_e32 v58, v76, v68
	v_dot2c_f32_f16_e32 v59, v76, v69
	;; [unrolled: 1-line block ×16, first 2 shown]
	ds_read_b128 v[76:79], v66 offset:7168
	s_waitcnt lgkmcnt(1)
	v_dot2c_f32_f16_e32 v2, v72, v80
	v_dot2c_f32_f16_e32 v3, v72, v81
	;; [unrolled: 1-line block ×16, first 2 shown]
	ds_read_b128 v[80:83], v67 offset:23552
	v_dot2c_f32_f16_e32 v6, v72, v68
	v_dot2c_f32_f16_e32 v7, v72, v69
	;; [unrolled: 1-line block ×16, first 2 shown]
	ds_read_b128 v[68:71], v67 offset:23808
	ds_read_b128 v[72:75], v66 offset:7424
	s_waitcnt lgkmcnt(2)
	v_dot2c_f32_f16_e32 v62, v76, v80
	v_dot2c_f32_f16_e32 v63, v76, v81
	v_dot2c_f32_f16_e32 v60, v76, v82
	v_dot2c_f32_f16_e32 v61, v76, v83
	v_dot2c_f32_f16_e32 v50, v77, v80
	v_dot2c_f32_f16_e32 v51, v77, v81
	v_dot2c_f32_f16_e32 v48, v77, v82
	v_dot2c_f32_f16_e32 v49, v77, v83
	v_dot2c_f32_f16_e32 v46, v78, v80
	v_dot2c_f32_f16_e32 v47, v78, v81
	v_dot2c_f32_f16_e32 v42, v78, v82
	v_dot2c_f32_f16_e32 v43, v78, v83
	v_dot2c_f32_f16_e32 v28, v79, v80
	v_dot2c_f32_f16_e32 v29, v79, v81
	v_dot2c_f32_f16_e32 v26, v79, v82
	v_dot2c_f32_f16_e32 v27, v79, v83
	s_waitcnt lgkmcnt(1)
	v_dot2c_f32_f16_e32 v58, v76, v68
	v_dot2c_f32_f16_e32 v59, v76, v69
	;; [unrolled: 1-line block ×16, first 2 shown]
	ds_read_b128 v[76:79], v66 offset:7680
	s_waitcnt lgkmcnt(1)
	v_dot2c_f32_f16_e32 v2, v72, v80
	v_dot2c_f32_f16_e32 v3, v72, v81
	;; [unrolled: 1-line block ×16, first 2 shown]
	ds_read_b128 v[80:83], v67 offset:24064
	v_or_b32_e32 v91, s12, v65
	v_dot2c_f32_f16_e32 v6, v72, v68
	v_dot2c_f32_f16_e32 v7, v72, v69
	;; [unrolled: 1-line block ×16, first 2 shown]
	ds_read_b128 v[68:71], v67 offset:24320
	ds_read_b128 v[72:75], v66 offset:7936
	v_add_u32_e32 v90, s14, v64
	v_mul_lo_u32 v64, v91, s34
	v_mad_u64_u32 v[64:65], s[2:3], v90, s35, v[64:65]
	s_lshl_b32 s26, s33, 1
	s_and_b32 s25, s13, 0xffff
	s_mov_b32 s27, s11
	v_lshlrev_b32_e32 v65, 1, v64
	s_lshl_b32 s14, s35, 6
	buffer_load_dwordx2 v[66:67], v65, s[24:27], 0 offen
	v_add_lshl_u32 v65, v64, s14, 1
	s_waitcnt lgkmcnt(2)
	v_dot2c_f32_f16_e32 v62, v76, v80
	v_dot2c_f32_f16_e32 v63, v76, v81
	;; [unrolled: 1-line block ×8, first 2 shown]
	s_waitcnt lgkmcnt(1)
	v_dot2c_f32_f16_e32 v58, v76, v68
	v_dot2c_f32_f16_e32 v59, v76, v69
	;; [unrolled: 1-line block ×8, first 2 shown]
	buffer_load_dwordx2 v[76:77], v65, s[24:27], 0 offen
	v_add_u32_e32 v84, s34, v64
	v_add_u32_e32 v86, s34, v84
	v_dot2c_f32_f16_e32 v46, v78, v80
	v_dot2c_f32_f16_e32 v47, v78, v81
	;; [unrolled: 1-line block ×9, first 2 shown]
	s_waitcnt lgkmcnt(0)
	v_dot2c_f32_f16_e32 v2, v72, v80
	v_dot2c_f32_f16_e32 v14, v73, v80
	;; [unrolled: 1-line block ×3, first 2 shown]
	v_lshlrev_b32_e32 v64, 1, v84
	v_add_lshl_u32 v78, v84, s14, 1
	v_dot2c_f32_f16_e32 v34, v75, v80
	v_lshlrev_b32_e32 v80, 1, v86
	v_dot2c_f32_f16_e32 v29, v79, v81
	v_dot2c_f32_f16_e32 v26, v79, v82
	;; [unrolled: 1-line block ×7, first 2 shown]
	buffer_load_dwordx2 v[78:79], v78, s[24:27], 0 offen
	v_dot2c_f32_f16_e32 v3, v72, v81
	buffer_load_dwordx2 v[84:85], v80, s[24:27], 0 offen
	v_add_lshl_u32 v80, v86, s14, 1
	buffer_load_dwordx2 v[64:65], v64, s[24:27], 0 offen
	v_dot2c_f32_f16_e32 v0, v72, v82
	v_dot2c_f32_f16_e32 v15, v73, v81
	;; [unrolled: 1-line block ×6, first 2 shown]
	buffer_load_dwordx2 v[80:81], v80, s[24:27], 0 offen
	v_dot2c_f32_f16_e32 v30, v75, v82
	v_add_u32_e32 v82, s34, v86
	v_dot2c_f32_f16_e32 v1, v72, v83
	v_dot2c_f32_f16_e32 v11, v73, v83
	;; [unrolled: 1-line block ×4, first 2 shown]
	v_lshlrev_b32_e32 v83, 1, v82
	buffer_load_dwordx2 v[86:87], v83, s[24:27], 0 offen
	v_add_lshl_u32 v83, v82, s14, 1
	buffer_load_dwordx2 v[88:89], v83, s[24:27], 0 offen
	v_dot2c_f32_f16_e32 v24, v74, v68
	v_dot2c_f32_f16_e32 v25, v74, v69
	;; [unrolled: 1-line block ×4, first 2 shown]
	v_add_u32_e32 v74, 64, v90
	v_cmp_gt_i32_e64 s[2:3], s31, v90
	v_cmp_gt_i32_e32 vcc, s29, v91
	v_cmp_gt_i32_e64 s[4:5], s31, v74
	s_load_dwordx2 s[12:13], s[0:1], 0x1e8
	s_load_dword s10, s[0:1], 0x1f4
	s_load_dword s16, s[0:1], 0x200
	;; [unrolled: 1-line block ×3, first 2 shown]
	s_and_b64 s[0:1], vcc, s[2:3]
	s_and_b64 vcc, vcc, s[4:5]
	v_dot2c_f32_f16_e32 v6, v72, v68
	v_dot2c_f32_f16_e32 v7, v72, v69
	;; [unrolled: 1-line block ×9, first 2 shown]
	s_waitcnt vmcnt(7)
	v_cndmask_b32_e64 v69, 0, v67, s[0:1]
	v_cndmask_b32_e64 v67, 0, v66, s[0:1]
	v_dot2c_f32_f16_e32 v12, v73, v68
	v_or_b32_e32 v92, 2, v91
	v_cvt_f32_f16_e32 v66, v67
	v_cvt_f32_f16_sdwa v67, v67 dst_sel:DWORD dst_unused:UNUSED_PAD src0_sel:WORD_1
	v_cvt_f32_f16_e32 v68, v69
	v_cvt_f32_f16_sdwa v69, v69 dst_sel:DWORD dst_unused:UNUSED_PAD src0_sel:WORD_1
	v_or_b32_e32 v93, 3, v91
	v_pk_add_f32 v[62:63], v[62:63], v[66:67]
	v_dot2c_f32_f16_e32 v8, v73, v70
	v_pk_add_f32 v[60:61], v[60:61], v[68:69]
	s_waitcnt vmcnt(6)
	v_cndmask_b32_e32 v72, 0, v76, vcc
	v_or_b32_e32 v76, 1, v91
	v_cndmask_b32_e32 v75, 0, v77, vcc
	v_cmp_gt_i32_e32 vcc, s29, v76
	s_and_b64 s[0:1], vcc, s[2:3]
	s_and_b64 vcc, vcc, s[4:5]
	v_max_f32_e32 v63, 0, v63
	v_max_f32_e32 v62, 0, v62
	;; [unrolled: 1-line block ×4, first 2 shown]
	v_dot2c_f32_f16_e32 v9, v73, v71
	v_cvt_pk_f16_f32 v62, v62, v63
	v_cvt_pk_f16_f32 v63, v60, v61
	s_waitcnt lgkmcnt(0)
	v_mul_lo_u32 v60, v91, s12
	v_cmp_gt_i32_e64 s[6:7], s10, v91
	s_lshl_b32 s22, s8, 1
	s_and_b32 s21, s15, 0xffff
	s_mov_b32 s23, s11
	s_lshl_b32 s11, s13, 6
	s_waitcnt vmcnt(5)
	v_cndmask_b32_e32 v79, 0, v79, vcc
	v_cndmask_b32_e32 v78, 0, v78, vcc
	v_cmp_gt_i32_e32 vcc, s29, v92
	s_waitcnt vmcnt(3)
	v_cndmask_b32_e64 v77, 0, v65, s[0:1]
	v_cndmask_b32_e64 v83, 0, v64, s[0:1]
	s_and_b64 s[0:1], vcc, s[2:3]
	s_and_b64 vcc, vcc, s[4:5]
	v_cndmask_b32_e64 v85, 0, v85, s[0:1]
	v_cndmask_b32_e64 v84, 0, v84, s[0:1]
	s_waitcnt vmcnt(2)
	v_cndmask_b32_e32 v81, 0, v81, vcc
	v_cndmask_b32_e32 v80, 0, v80, vcc
	v_cmp_gt_i32_e32 vcc, s29, v93
	s_and_b64 s[0:1], vcc, s[2:3]
	s_and_b64 vcc, vcc, s[4:5]
	s_waitcnt vmcnt(1)
	v_cndmask_b32_e64 v87, 0, v87, s[0:1]
	v_cndmask_b32_e64 v86, 0, v86, s[0:1]
	v_mad_u64_u32 v[64:65], s[0:1], s34, 61, v[82:83]
	v_lshlrev_b32_e32 v70, 1, v64
	v_add_lshl_u32 v71, v64, s14, 1
	v_add_u32_e32 v82, s34, v64
	s_waitcnt vmcnt(0)
	v_cndmask_b32_e32 v89, 0, v89, vcc
	v_cndmask_b32_e32 v88, 0, v88, vcc
	v_lshlrev_b32_e32 v73, 1, v82
	buffer_load_dwordx2 v[64:65], v70, s[24:27], 0 offen
	buffer_load_dwordx2 v[66:67], v71, s[24:27], 0 offen
	;; [unrolled: 1-line block ×3, first 2 shown]
	v_mad_u64_u32 v[70:71], s[0:1], v90, s13, v[60:61]
	v_cmp_gt_i32_e32 vcc, s16, v90
	v_bfrev_b32_e32 v60, 1
	s_and_b64 s[0:1], s[6:7], vcc
	v_cndmask_b32_e64 v61, v60, 0, s[0:1]
	v_lshl_add_u32 v61, v70, 1, v61
	buffer_store_dwordx2 v[62:63], v61, s[20:23], 0 offen
	v_add_lshl_u32 v61, v82, s14, 1
	v_cvt_f32_f16_e32 v62, v72
	v_cvt_f32_f16_sdwa v63, v72 dst_sel:DWORD dst_unused:UNUSED_PAD src0_sel:WORD_1
	buffer_load_dwordx2 v[72:73], v61, s[24:27], 0 offen
	v_or_b32_e32 v71, 0x41, v91
	v_add_u32_e32 v90, s11, v70
	v_pk_add_f32 v[62:63], v[58:59], v[62:63]
	v_or_b32_e32 v58, 64, v91
	v_cmp_gt_i32_e64 s[0:1], s29, v58
	s_and_b64 s[8:9], s[0:1], s[2:3]
	s_and_b64 s[0:1], s[0:1], s[4:5]
	v_max_f32_e32 v63, 0, v63
	v_max_f32_e32 v62, 0, v62
	s_waitcnt vmcnt(4)
	v_cndmask_b32_e64 v59, 0, v65, s[8:9]
	v_cndmask_b32_e64 v61, 0, v64, s[8:9]
	v_cvt_f32_f16_e32 v64, v75
	v_cvt_f32_f16_sdwa v65, v75 dst_sel:DWORD dst_unused:UNUSED_PAD src0_sel:WORD_1
	s_waitcnt vmcnt(3)
	v_cndmask_b32_e64 v67, 0, v67, s[0:1]
	v_cndmask_b32_e64 v66, 0, v66, s[0:1]
	v_cmp_gt_i32_e64 s[0:1], s29, v71
	s_and_b64 s[8:9], s[0:1], s[2:3]
	s_and_b64 s[0:1], s[0:1], s[4:5]
	v_pk_add_f32 v[56:57], v[56:57], v[64:65]
	v_add_u32_e32 v75, s34, v82
	v_max_f32_e32 v57, 0, v57
	v_max_f32_e32 v64, 0, v56
	v_cvt_pk_f16_f32 v56, v62, v63
	s_waitcnt vmcnt(0)
	v_cndmask_b32_e64 v73, 0, v73, s[0:1]
	v_cndmask_b32_e64 v72, 0, v72, s[0:1]
	v_cmp_gt_i32_e64 s[0:1], s16, v74
	s_and_b64 s[6:7], s[6:7], s[0:1]
	v_cvt_pk_f16_f32 v57, v64, v57
	v_cvt_f32_f16_e32 v62, v78
	v_cvt_f32_f16_sdwa v63, v78 dst_sel:DWORD dst_unused:UNUSED_PAD src0_sel:WORD_1
	v_cndmask_b32_e64 v64, v60, 0, s[6:7]
	v_lshl_add_u32 v64, v90, 1, v64
	buffer_store_dwordx2 v[56:57], v64, s[20:23], 0 offen
	v_cvt_f32_f16_e32 v56, v79
	v_cvt_f32_f16_sdwa v57, v79 dst_sel:DWORD dst_unused:UNUSED_PAD src0_sel:WORD_1
	v_lshlrev_b32_e32 v82, 1, v75
	v_add_lshl_u32 v74, v75, s14, 1
	v_pk_add_f32 v[54:55], v[54:55], v[62:63]
	buffer_load_dwordx2 v[62:63], v82, s[24:27], 0 offen
	buffer_load_dwordx2 v[64:65], v74, s[24:27], 0 offen
	v_add_u32_e32 v74, s34, v75
	v_lshlrev_b32_e32 v75, 1, v74
	v_pk_add_f32 v[52:53], v[52:53], v[56:57]
	buffer_load_dwordx2 v[56:57], v75, s[24:27], 0 offen
	v_add_lshl_u32 v74, v74, s14, 1
	v_max_f32_e32 v75, 0, v53
	v_max_f32_e32 v78, 0, v52
	buffer_load_dwordx2 v[52:53], v74, s[24:27], 0 offen
	v_or_b32_e32 v74, 0x42, v91
	v_max_f32_e32 v55, 0, v55
	v_max_f32_e32 v54, 0, v54
	v_cmp_gt_i32_e64 s[6:7], s29, v74
	v_cndmask_b32_e64 v69, 0, v69, s[8:9]
	v_cndmask_b32_e64 v68, 0, v68, s[8:9]
	v_cvt_pk_f16_f32 v54, v54, v55
	v_cvt_pk_f16_f32 v55, v78, v75
	s_and_b64 s[8:9], s[6:7], s[2:3]
	s_and_b64 s[6:7], s[6:7], s[4:5]
	v_or_b32_e32 v75, 0x43, v91
	v_add_u32_e32 v82, s12, v90
	s_waitcnt vmcnt(3)
	v_cndmask_b32_e64 v62, 0, v62, s[8:9]
	s_waitcnt vmcnt(2)
	v_cndmask_b32_e64 v65, 0, v65, s[6:7]
	v_cndmask_b32_e64 v64, 0, v64, s[6:7]
	v_cmp_gt_i32_e64 s[6:7], s29, v75
	s_and_b64 s[2:3], s[6:7], s[2:3]
	s_waitcnt vmcnt(1)
	v_cndmask_b32_e64 v57, 0, v57, s[2:3]
	v_cndmask_b32_e64 v56, 0, v56, s[2:3]
	s_and_b64 s[2:3], s[6:7], s[4:5]
	s_lshl_b32 s6, s12, 6
	s_waitcnt vmcnt(0)
	v_cndmask_b32_e64 v78, 0, v53, s[2:3]
	v_cndmask_b32_e64 v79, 0, v52, s[2:3]
	v_cvt_f32_f16_e32 v52, v83
	v_cvt_f32_f16_sdwa v53, v83 dst_sel:DWORD dst_unused:UNUSED_PAD src0_sel:WORD_1
	v_cmp_gt_i32_e64 s[2:3], s10, v76
	s_and_b64 s[4:5], s[2:3], s[0:1]
	v_cndmask_b32_e64 v76, v60, 0, s[4:5]
	v_pk_add_f32 v[50:51], v[50:51], v[52:53]
	v_cvt_f32_f16_e32 v52, v77
	v_cvt_f32_f16_sdwa v53, v77 dst_sel:DWORD dst_unused:UNUSED_PAD src0_sel:WORD_1
	v_max_f32_e32 v51, 0, v51
	v_max_f32_e32 v50, 0, v50
	v_cvt_pk_f16_f32 v50, v50, v51
	v_pk_add_f32 v[48:49], v[48:49], v[52:53]
	v_lshl_add_u32 v76, v82, 1, v76
	v_max_f32_e32 v49, 0, v49
	v_max_f32_e32 v48, 0, v48
	v_cvt_pk_f16_f32 v51, v48, v49
	v_cvt_f32_f16_e32 v48, v84
	v_cvt_f32_f16_sdwa v49, v84 dst_sel:DWORD dst_unused:UNUSED_PAD src0_sel:WORD_1
	s_and_b64 s[2:3], s[2:3], vcc
	buffer_store_dwordx2 v[54:55], v76, s[20:23], 0 offen
	v_add_u32_e32 v54, s12, v70
	v_pk_add_f32 v[46:47], v[46:47], v[48:49]
	v_cvt_f32_f16_e32 v48, v85
	v_cvt_f32_f16_sdwa v49, v85 dst_sel:DWORD dst_unused:UNUSED_PAD src0_sel:WORD_1
	v_max_f32_e32 v47, 0, v47
	v_max_f32_e32 v46, 0, v46
	v_cvt_pk_f16_f32 v46, v46, v47
	v_pk_add_f32 v[42:43], v[42:43], v[48:49]
	v_cndmask_b32_e64 v52, v60, 0, s[2:3]
	v_max_f32_e32 v43, 0, v43
	v_max_f32_e32 v42, 0, v42
	v_cvt_pk_f16_f32 v47, v42, v43
	v_cvt_f32_f16_e32 v42, v80
	v_cvt_f32_f16_sdwa v43, v80 dst_sel:DWORD dst_unused:UNUSED_PAD src0_sel:WORD_1
	v_cmp_gt_i32_e64 s[2:3], s10, v92
	v_lshl_add_u32 v52, v54, 1, v52
	s_and_b64 s[4:5], s[2:3], vcc
	v_pk_add_f32 v[42:43], v[44:45], v[42:43]
	v_cvt_f32_f16_e32 v44, v81
	v_cvt_f32_f16_sdwa v45, v81 dst_sel:DWORD dst_unused:UNUSED_PAD src0_sel:WORD_1
	v_max_f32_e32 v43, 0, v43
	v_max_f32_e32 v42, 0, v42
	v_cvt_pk_f16_f32 v42, v42, v43
	v_pk_add_f32 v[40:41], v[40:41], v[44:45]
	buffer_store_dwordx2 v[50:51], v52, s[20:23], 0 offen
	v_max_f32_e32 v41, 0, v41
	v_max_f32_e32 v40, 0, v40
	v_cvt_pk_f16_f32 v43, v40, v41
	v_cvt_f32_f16_e32 v40, v88
	v_cvt_f32_f16_sdwa v41, v88 dst_sel:DWORD dst_unused:UNUSED_PAD src0_sel:WORD_1
	v_add_u32_e32 v50, s12, v54
	v_cndmask_b32_e64 v48, v60, 0, s[4:5]
	v_lshl_add_u32 v48, v50, 1, v48
	v_pk_add_f32 v[38:39], v[38:39], v[40:41]
	v_cvt_f32_f16_e32 v40, v89
	v_cvt_f32_f16_sdwa v41, v89 dst_sel:DWORD dst_unused:UNUSED_PAD src0_sel:WORD_1
	v_max_f32_e32 v39, 0, v39
	v_max_f32_e32 v38, 0, v38
	v_cvt_pk_f16_f32 v38, v38, v39
	v_pk_add_f32 v[36:37], v[36:37], v[40:41]
	s_and_b64 s[2:3], s[2:3], s[0:1]
	v_max_f32_e32 v37, 0, v37
	v_max_f32_e32 v36, 0, v36
	v_cvt_pk_f16_f32 v39, v36, v37
	v_cvt_f32_f16_e32 v36, v86
	v_cvt_f32_f16_sdwa v37, v86 dst_sel:DWORD dst_unused:UNUSED_PAD src0_sel:WORD_1
	buffer_store_dwordx2 v[46:47], v48, s[20:23], 0 offen
	v_add_u32_e32 v46, s12, v82
	v_cndmask_b32_e64 v44, v60, 0, s[2:3]
	v_pk_add_f32 v[28:29], v[28:29], v[36:37]
	v_cvt_f32_f16_e32 v36, v87
	v_cvt_f32_f16_sdwa v37, v87 dst_sel:DWORD dst_unused:UNUSED_PAD src0_sel:WORD_1
	v_cmp_gt_i32_e64 s[2:3], s10, v93
	v_lshl_add_u32 v44, v46, 1, v44
	s_and_b64 s[4:5], s[2:3], s[0:1]
	buffer_store_dwordx2 v[42:43], v44, s[20:23], 0 offen
	v_add_u32_e32 v42, s12, v46
	v_cndmask_b32_e64 v40, v60, 0, s[4:5]
	v_pk_add_f32 v[26:27], v[26:27], v[36:37]
	v_lshl_add_u32 v40, v42, 1, v40
	v_max_f32_e32 v29, 0, v29
	v_max_f32_e32 v28, 0, v28
	;; [unrolled: 1-line block ×4, first 2 shown]
	s_and_b64 s[2:3], s[2:3], vcc
	buffer_store_dwordx2 v[38:39], v40, s[20:23], 0 offen
	v_subrev_u32_e32 v38, s11, v42
	v_cvt_pk_f16_f32 v28, v28, v29
	v_cvt_pk_f16_f32 v29, v26, v27
	v_cndmask_b32_e64 v26, v60, 0, s[2:3]
	v_lshl_add_u32 v36, v38, 1, v26
	v_cvt_f32_f16_e32 v26, v56
	v_cvt_f32_f16_sdwa v27, v56 dst_sel:DWORD dst_unused:UNUSED_PAD src0_sel:WORD_1
	buffer_store_dwordx2 v[28:29], v36, s[20:23], 0 offen
	v_cvt_f32_f16_e32 v28, v57
	v_cvt_f32_f16_sdwa v29, v57 dst_sel:DWORD dst_unused:UNUSED_PAD src0_sel:WORD_1
	v_pk_add_f32 v[26:27], v[34:35], v[26:27]
	v_cmp_gt_i32_e64 s[2:3], s10, v75
	v_max_f32_e32 v27, 0, v27
	v_max_f32_e32 v26, 0, v26
	v_pk_add_f32 v[28:29], v[30:31], v[28:29]
	v_cvt_pk_f16_f32 v26, v26, v27
	v_max_f32_e32 v27, 0, v29
	v_max_f32_e32 v28, 0, v28
	v_cvt_pk_f16_f32 v27, v28, v27
	v_cvt_f32_f16_e32 v28, v79
	v_cvt_f32_f16_sdwa v29, v79 dst_sel:DWORD dst_unused:UNUSED_PAD src0_sel:WORD_1
	s_and_b64 s[4:5], s[2:3], vcc
	v_add_u32_e32 v36, s6, v38
	v_cndmask_b32_e64 v30, v60, 0, s[4:5]
	v_lshl_add_u32 v30, v36, 1, v30
	buffer_store_dwordx2 v[26:27], v30, s[20:23], 0 offen
	v_pk_add_f32 v[26:27], v[32:33], v[28:29]
	v_cvt_f32_f16_e32 v28, v78
	v_cvt_f32_f16_sdwa v29, v78 dst_sel:DWORD dst_unused:UNUSED_PAD src0_sel:WORD_1
	v_max_f32_e32 v27, 0, v27
	v_max_f32_e32 v26, 0, v26
	v_cvt_pk_f16_f32 v26, v26, v27
	v_pk_add_f32 v[16:17], v[16:17], v[28:29]
	s_and_b64 s[2:3], s[2:3], s[0:1]
	v_max_f32_e32 v17, 0, v17
	v_max_f32_e32 v16, 0, v16
	v_cvt_pk_f16_f32 v27, v16, v17
	v_cvt_f32_f16_e32 v16, v64
	v_cvt_f32_f16_sdwa v17, v64 dst_sel:DWORD dst_unused:UNUSED_PAD src0_sel:WORD_1
	v_add_u32_e32 v30, s6, v42
	v_cndmask_b32_e64 v28, v60, 0, s[2:3]
	v_cmp_ge_i32_e64 s[2:3], s10, v75
	v_pk_add_f32 v[16:17], v[24:25], v[16:17]
	v_cvt_f32_f16_e32 v24, v65
	v_cvt_f32_f16_sdwa v25, v65 dst_sel:DWORD dst_unused:UNUSED_PAD src0_sel:WORD_1
	v_max_f32_e32 v17, 0, v17
	v_max_f32_e32 v16, 0, v16
	v_cvt_pk_f16_f32 v16, v16, v17
	v_pk_add_f32 v[22:23], v[22:23], v[24:25]
	v_lshl_add_u32 v28, v30, 1, v28
	v_max_f32_e32 v17, 0, v23
	v_max_f32_e32 v22, 0, v22
	v_cvt_pk_f16_f32 v17, v22, v17
	v_cvt_f32_f16_e32 v22, v62
	v_cvt_f32_f16_sdwa v23, v62 dst_sel:DWORD dst_unused:UNUSED_PAD src0_sel:WORD_1
	s_and_b64 s[2:3], s[2:3], s[0:1]
	buffer_store_dwordx2 v[26:27], v28, s[20:23], 0 offen
	v_add_u32_e32 v26, s6, v46
	v_cndmask_b32_e64 v24, v60, 0, s[2:3]
	v_cndmask_b32_e64 v63, 0, v63, s[8:9]
	v_lshl_add_u32 v24, v26, 1, v24
	buffer_store_dwordx2 v[16:17], v24, s[20:23], 0 offen
	v_pk_add_f32 v[16:17], v[20:21], v[22:23]
	v_cvt_f32_f16_e32 v20, v63
	v_cvt_f32_f16_sdwa v21, v63 dst_sel:DWORD dst_unused:UNUSED_PAD src0_sel:WORD_1
	v_cmp_gt_i32_e64 s[2:3], s10, v74
	v_max_f32_e32 v17, 0, v17
	v_max_f32_e32 v16, 0, v16
	v_pk_add_f32 v[18:19], v[18:19], v[20:21]
	s_and_b64 s[2:3], s[2:3], vcc
	v_subrev_u32_e32 v24, s11, v26
	v_cvt_pk_f16_f32 v16, v16, v17
	v_max_f32_e32 v17, 0, v19
	v_max_f32_e32 v18, 0, v18
	v_cndmask_b32_e64 v20, v60, 0, s[2:3]
	v_cvt_pk_f16_f32 v17, v18, v17
	v_lshl_add_u32 v20, v24, 1, v20
	v_cvt_f32_f16_e32 v18, v68
	v_cvt_f32_f16_sdwa v19, v68 dst_sel:DWORD dst_unused:UNUSED_PAD src0_sel:WORD_1
	buffer_store_dwordx2 v[16:17], v20, s[20:23], 0 offen
	v_cvt_f32_f16_e32 v16, v69
	v_cvt_f32_f16_sdwa v17, v69 dst_sel:DWORD dst_unused:UNUSED_PAD src0_sel:WORD_1
	v_pk_add_f32 v[14:15], v[14:15], v[18:19]
	v_cmp_ge_i32_e64 s[2:3], s10, v74
	v_max_f32_e32 v15, 0, v15
	v_pk_add_f32 v[10:11], v[10:11], v[16:17]
	v_max_f32_e32 v14, 0, v14
	v_max_f32_e32 v11, 0, v11
	;; [unrolled: 1-line block ×3, first 2 shown]
	v_cvt_pk_f16_f32 v14, v14, v15
	v_cvt_pk_f16_f32 v15, v10, v11
	v_cvt_f32_f16_e32 v10, v72
	v_cvt_f32_f16_sdwa v11, v72 dst_sel:DWORD dst_unused:UNUSED_PAD src0_sel:WORD_1
	s_and_b64 s[2:3], s[2:3], vcc
	v_subrev_u32_e32 v20, s12, v24
	v_cndmask_b32_e64 v16, v60, 0, s[2:3]
	v_pk_add_f32 v[10:11], v[12:13], v[10:11]
	v_cvt_f32_f16_e32 v12, v73
	v_cvt_f32_f16_sdwa v13, v73 dst_sel:DWORD dst_unused:UNUSED_PAD src0_sel:WORD_1
	v_max_f32_e32 v11, 0, v11
	v_max_f32_e32 v10, 0, v10
	v_cvt_pk_f16_f32 v10, v10, v11
	v_pk_add_f32 v[8:9], v[8:9], v[12:13]
	v_cmp_gt_i32_e64 s[2:3], s10, v71
	v_max_f32_e32 v9, 0, v9
	v_max_f32_e32 v8, 0, v8
	v_cvt_pk_f16_f32 v11, v8, v9
	v_cvt_f32_f16_e32 v8, v66
	v_cvt_f32_f16_sdwa v9, v66 dst_sel:DWORD dst_unused:UNUSED_PAD src0_sel:WORD_1
	v_lshl_add_u32 v16, v20, 1, v16
	s_and_b64 s[2:3], s[2:3], s[0:1]
	buffer_store_dwordx2 v[14:15], v16, s[20:23], 0 offen
	v_pk_add_f32 v[6:7], v[6:7], v[8:9]
	v_cvt_f32_f16_e32 v8, v67
	v_cvt_f32_f16_sdwa v9, v67 dst_sel:DWORD dst_unused:UNUSED_PAD src0_sel:WORD_1
	v_max_f32_e32 v7, 0, v7
	v_max_f32_e32 v6, 0, v6
	v_cvt_pk_f16_f32 v6, v6, v7
	v_pk_add_f32 v[4:5], v[4:5], v[8:9]
	v_add_u32_e32 v14, s11, v20
	v_max_f32_e32 v5, 0, v5
	v_max_f32_e32 v4, 0, v4
	v_cvt_pk_f16_f32 v7, v4, v5
	v_cvt_f32_f16_e32 v4, v61
	v_cvt_f32_f16_sdwa v5, v61 dst_sel:DWORD dst_unused:UNUSED_PAD src0_sel:WORD_1
	v_cndmask_b32_e64 v12, v60, 0, s[2:3]
	v_cmp_ge_i32_e64 s[2:3], s10, v71
	v_lshl_add_u32 v12, v14, 1, v12
	v_pk_add_f32 v[2:3], v[2:3], v[4:5]
	v_cvt_f32_f16_e32 v4, v59
	v_cvt_f32_f16_sdwa v5, v59 dst_sel:DWORD dst_unused:UNUSED_PAD src0_sel:WORD_1
	s_and_b64 s[0:1], s[2:3], s[0:1]
	buffer_store_dwordx2 v[10:11], v12, s[20:23], 0 offen
	v_subrev_u32_e32 v10, s12, v14
	v_cndmask_b32_e64 v8, v60, 0, s[0:1]
	v_pk_add_f32 v[0:1], v[0:1], v[4:5]
	v_cmp_gt_i32_e64 s[0:1], s10, v58
	v_lshl_add_u32 v8, v10, 1, v8
	v_max_f32_e32 v3, 0, v3
	v_max_f32_e32 v2, 0, v2
	;; [unrolled: 1-line block ×4, first 2 shown]
	s_and_b64 s[0:1], s[0:1], vcc
	buffer_store_dwordx2 v[6:7], v8, s[20:23], 0 offen
	v_subrev_u32_e32 v6, s11, v10
	v_cvt_pk_f16_f32 v2, v2, v3
	v_cvt_pk_f16_f32 v3, v0, v1
	v_cndmask_b32_e64 v0, v60, 0, s[0:1]
	v_lshl_add_u32 v0, v6, 1, v0
	buffer_store_dwordx2 v[2:3], v0, s[20:23], 0 offen
	s_endpgm
	.section	.rodata,"a",@progbits
	.p2align	6, 0x0
	.amdhsa_kernel _ZN2ck16tensor_operation6device12_GLOBAL__N_137kernel_grouped_conv_fwd_dl_multiple_dINS_32GridwiseGemmDlMultipleD_km_kn_mnILi256EDF16_fNS_5TupleIJDF16_EEEDF16_NS0_12element_wise11PassThroughES8_NS7_7AddReluELNS_25InMemoryDataOperationEnumE0ENS_16TensorDescriptorINS5_IJNS_5EmbedINS5_IJiiiiEEESD_Lb0EEENS_11PassThroughIiEENS_3PadIiiiLb0EEESI_SG_SG_NSC_INS5_IJiiEEESJ_Lb0EEESK_SG_NS_23Merge_v2_magic_divisionINS5_IJiiiEEEEESN_NS_8RightPadIiiLb0EEESP_NS_7UnMergeISJ_Lb0EEESG_EEENS5_IJNS_8SequenceIJLi0EEEENST_IJLi1EEEENST_IJLi2EEEENST_IJLi3EEEENST_IJLi4EEEENST_IJLi5EEEENST_IJLi6EEEENST_IJLi7EEEENST_IJLi8EEEENST_IJLi9ELi11ELi13EEEENST_IJLi10ELi12ELi14EEEENST_IJLi15EEEENST_IJLi16EEEENST_IJLi18EEEENST_IJLi17EEEEEEENS5_IJNST_IJLi1ELi2ELi3ELi4EEEESZ_S10_S11_S12_NST_IJLi9EEEENST_IJLi10ELi11EEEENST_IJLi12ELi13EEEENST_IJLi14EEEES15_S16_S18_S17_NST_IJLi19ELi20EEEENST_IJLi21EEEEEEENST_IJLi19ELi21ELi20EEEElEENSB_INS5_IJSR_SP_SP_SR_SG_EEENS5_IJSU_SV_SW_SY_SX_EEENS5_IJNST_IJLi1ELi2EEEESX_SY_NST_IJLi5ELi6EEEES11_EEENST_IJLi5ELi7ELi6EEEElEENSB_INS5_IJSK_SP_SP_EEENS5_IJSU_SV_SW_EEENS5_IJS1M_SX_SY_EEENST_IJLi3ELi4EEEElEELi128ELi128ELi16ELi2ELi4ELi4ELi1ENST_IJLi8ELi2EEEES1W_NST_IJLi8ELi1ELi1ELi2EEEENST_IJLi2ELi1ELi128ELi1EEEENST_IJLi1ELi2ELi0ELi3EEEES1Z_NST_IJLi4ELi1ELi1ELi2EEEES1Z_NST_IJLi1ELi1ELi1ELi2EEEES1X_S1Y_S1Z_S1Z_S20_S1Z_S21_NST_IJLi0ELi1ELi2ELi3ELi4ELi5EEEELi5ELi4EEEDF16_NS5_IJPKDF16_EEEDF16_S8_S8_S9_NSB_INS5_IJSE_SG_SI_SI_SG_SG_SK_SK_SG_SN_SN_SP_SP_SR_SG_SG_NSQ_INS5_IJiNS_17integral_constantIiLi128EEEEEELb0EEENSF_INS27_IiLi2EEEEEEEENS5_IJSU_SV_SW_SX_SY_SZ_S10_S11_S12_S13_S14_S15_S16_S17_S18_NST_IJLi19EEEES1G_NST_IJLi20EEEEEEENS5_IJS1A_SZ_S10_S11_S12_S1B_S1C_S1D_S1E_S15_S16_S18_S17_S1F_S1G_NST_IJLi22EEEENST_IJLi23ELi24EEEENST_IJLi25EEEEEEENST_IJLi22ELi23ELi24ELi25EEEElEENSB_INS5_IJSR_SP_SP_SR_SG_SG_S2A_S2C_EEENS5_IJSU_SV_SW_SY_SX_SZ_S11_S10_EEENS5_IJS1M_SX_SY_S1N_S11_S12_NST_IJLi9ELi10EEEENST_IJLi11EEEEEEENST_IJLi8ELi9ELi10ELi11EEEElEENS5_IJNSB_INS5_IJSK_SP_SP_NSQ_INS5_IJiS2B_NS27_IiLi64EEEEEELb0EEES2W_EEENS5_IJSU_SV_SW_SX_SY_EEENS5_IJS1M_SX_SY_NST_IJLi5ELi6ELi7EEEENST_IJLi8ELi9ELi10EEEEEEENST_IJLi5ELi6ELi7ELi8ELi9ELi10EEEElEEEEES33_NS_31BlockToCTileMap_M00_N00_M01_N01ILi128ELi128ES1V_Lb0EEENS1_30ComputePtrOffsetOfStridedBatchILi1ELi1ELi1EvEELb0ELb0EEEvPKT0_S3B_T1_PT2_T3_T4_T5_iT6_T7_T8_T9_T10_T11_
		.amdhsa_group_segment_fixed_size 32768
		.amdhsa_private_segment_fixed_size 0
		.amdhsa_kernarg_size 968
		.amdhsa_user_sgpr_count 2
		.amdhsa_user_sgpr_dispatch_ptr 0
		.amdhsa_user_sgpr_queue_ptr 0
		.amdhsa_user_sgpr_kernarg_segment_ptr 1
		.amdhsa_user_sgpr_dispatch_id 0
		.amdhsa_user_sgpr_kernarg_preload_length 0
		.amdhsa_user_sgpr_kernarg_preload_offset 0
		.amdhsa_user_sgpr_private_segment_size 0
		.amdhsa_uses_dynamic_stack 0
		.amdhsa_enable_private_segment 0
		.amdhsa_system_sgpr_workgroup_id_x 1
		.amdhsa_system_sgpr_workgroup_id_y 0
		.amdhsa_system_sgpr_workgroup_id_z 0
		.amdhsa_system_sgpr_workgroup_info 0
		.amdhsa_system_vgpr_workitem_id 0
		.amdhsa_next_free_vgpr 94
		.amdhsa_next_free_sgpr 96
		.amdhsa_accum_offset 96
		.amdhsa_reserve_vcc 1
		.amdhsa_float_round_mode_32 0
		.amdhsa_float_round_mode_16_64 0
		.amdhsa_float_denorm_mode_32 3
		.amdhsa_float_denorm_mode_16_64 3
		.amdhsa_dx10_clamp 1
		.amdhsa_ieee_mode 1
		.amdhsa_fp16_overflow 0
		.amdhsa_tg_split 0
		.amdhsa_exception_fp_ieee_invalid_op 0
		.amdhsa_exception_fp_denorm_src 0
		.amdhsa_exception_fp_ieee_div_zero 0
		.amdhsa_exception_fp_ieee_overflow 0
		.amdhsa_exception_fp_ieee_underflow 0
		.amdhsa_exception_fp_ieee_inexact 0
		.amdhsa_exception_int_div_zero 0
	.end_amdhsa_kernel
	.section	.text._ZN2ck16tensor_operation6device12_GLOBAL__N_137kernel_grouped_conv_fwd_dl_multiple_dINS_32GridwiseGemmDlMultipleD_km_kn_mnILi256EDF16_fNS_5TupleIJDF16_EEEDF16_NS0_12element_wise11PassThroughES8_NS7_7AddReluELNS_25InMemoryDataOperationEnumE0ENS_16TensorDescriptorINS5_IJNS_5EmbedINS5_IJiiiiEEESD_Lb0EEENS_11PassThroughIiEENS_3PadIiiiLb0EEESI_SG_SG_NSC_INS5_IJiiEEESJ_Lb0EEESK_SG_NS_23Merge_v2_magic_divisionINS5_IJiiiEEEEESN_NS_8RightPadIiiLb0EEESP_NS_7UnMergeISJ_Lb0EEESG_EEENS5_IJNS_8SequenceIJLi0EEEENST_IJLi1EEEENST_IJLi2EEEENST_IJLi3EEEENST_IJLi4EEEENST_IJLi5EEEENST_IJLi6EEEENST_IJLi7EEEENST_IJLi8EEEENST_IJLi9ELi11ELi13EEEENST_IJLi10ELi12ELi14EEEENST_IJLi15EEEENST_IJLi16EEEENST_IJLi18EEEENST_IJLi17EEEEEEENS5_IJNST_IJLi1ELi2ELi3ELi4EEEESZ_S10_S11_S12_NST_IJLi9EEEENST_IJLi10ELi11EEEENST_IJLi12ELi13EEEENST_IJLi14EEEES15_S16_S18_S17_NST_IJLi19ELi20EEEENST_IJLi21EEEEEEENST_IJLi19ELi21ELi20EEEElEENSB_INS5_IJSR_SP_SP_SR_SG_EEENS5_IJSU_SV_SW_SY_SX_EEENS5_IJNST_IJLi1ELi2EEEESX_SY_NST_IJLi5ELi6EEEES11_EEENST_IJLi5ELi7ELi6EEEElEENSB_INS5_IJSK_SP_SP_EEENS5_IJSU_SV_SW_EEENS5_IJS1M_SX_SY_EEENST_IJLi3ELi4EEEElEELi128ELi128ELi16ELi2ELi4ELi4ELi1ENST_IJLi8ELi2EEEES1W_NST_IJLi8ELi1ELi1ELi2EEEENST_IJLi2ELi1ELi128ELi1EEEENST_IJLi1ELi2ELi0ELi3EEEES1Z_NST_IJLi4ELi1ELi1ELi2EEEES1Z_NST_IJLi1ELi1ELi1ELi2EEEES1X_S1Y_S1Z_S1Z_S20_S1Z_S21_NST_IJLi0ELi1ELi2ELi3ELi4ELi5EEEELi5ELi4EEEDF16_NS5_IJPKDF16_EEEDF16_S8_S8_S9_NSB_INS5_IJSE_SG_SI_SI_SG_SG_SK_SK_SG_SN_SN_SP_SP_SR_SG_SG_NSQ_INS5_IJiNS_17integral_constantIiLi128EEEEEELb0EEENSF_INS27_IiLi2EEEEEEEENS5_IJSU_SV_SW_SX_SY_SZ_S10_S11_S12_S13_S14_S15_S16_S17_S18_NST_IJLi19EEEES1G_NST_IJLi20EEEEEEENS5_IJS1A_SZ_S10_S11_S12_S1B_S1C_S1D_S1E_S15_S16_S18_S17_S1F_S1G_NST_IJLi22EEEENST_IJLi23ELi24EEEENST_IJLi25EEEEEEENST_IJLi22ELi23ELi24ELi25EEEElEENSB_INS5_IJSR_SP_SP_SR_SG_SG_S2A_S2C_EEENS5_IJSU_SV_SW_SY_SX_SZ_S11_S10_EEENS5_IJS1M_SX_SY_S1N_S11_S12_NST_IJLi9ELi10EEEENST_IJLi11EEEEEEENST_IJLi8ELi9ELi10ELi11EEEElEENS5_IJNSB_INS5_IJSK_SP_SP_NSQ_INS5_IJiS2B_NS27_IiLi64EEEEEELb0EEES2W_EEENS5_IJSU_SV_SW_SX_SY_EEENS5_IJS1M_SX_SY_NST_IJLi5ELi6ELi7EEEENST_IJLi8ELi9ELi10EEEEEEENST_IJLi5ELi6ELi7ELi8ELi9ELi10EEEElEEEEES33_NS_31BlockToCTileMap_M00_N00_M01_N01ILi128ELi128ES1V_Lb0EEENS1_30ComputePtrOffsetOfStridedBatchILi1ELi1ELi1EvEELb0ELb0EEEvPKT0_S3B_T1_PT2_T3_T4_T5_iT6_T7_T8_T9_T10_T11_,"axG",@progbits,_ZN2ck16tensor_operation6device12_GLOBAL__N_137kernel_grouped_conv_fwd_dl_multiple_dINS_32GridwiseGemmDlMultipleD_km_kn_mnILi256EDF16_fNS_5TupleIJDF16_EEEDF16_NS0_12element_wise11PassThroughES8_NS7_7AddReluELNS_25InMemoryDataOperationEnumE0ENS_16TensorDescriptorINS5_IJNS_5EmbedINS5_IJiiiiEEESD_Lb0EEENS_11PassThroughIiEENS_3PadIiiiLb0EEESI_SG_SG_NSC_INS5_IJiiEEESJ_Lb0EEESK_SG_NS_23Merge_v2_magic_divisionINS5_IJiiiEEEEESN_NS_8RightPadIiiLb0EEESP_NS_7UnMergeISJ_Lb0EEESG_EEENS5_IJNS_8SequenceIJLi0EEEENST_IJLi1EEEENST_IJLi2EEEENST_IJLi3EEEENST_IJLi4EEEENST_IJLi5EEEENST_IJLi6EEEENST_IJLi7EEEENST_IJLi8EEEENST_IJLi9ELi11ELi13EEEENST_IJLi10ELi12ELi14EEEENST_IJLi15EEEENST_IJLi16EEEENST_IJLi18EEEENST_IJLi17EEEEEEENS5_IJNST_IJLi1ELi2ELi3ELi4EEEESZ_S10_S11_S12_NST_IJLi9EEEENST_IJLi10ELi11EEEENST_IJLi12ELi13EEEENST_IJLi14EEEES15_S16_S18_S17_NST_IJLi19ELi20EEEENST_IJLi21EEEEEEENST_IJLi19ELi21ELi20EEEElEENSB_INS5_IJSR_SP_SP_SR_SG_EEENS5_IJSU_SV_SW_SY_SX_EEENS5_IJNST_IJLi1ELi2EEEESX_SY_NST_IJLi5ELi6EEEES11_EEENST_IJLi5ELi7ELi6EEEElEENSB_INS5_IJSK_SP_SP_EEENS5_IJSU_SV_SW_EEENS5_IJS1M_SX_SY_EEENST_IJLi3ELi4EEEElEELi128ELi128ELi16ELi2ELi4ELi4ELi1ENST_IJLi8ELi2EEEES1W_NST_IJLi8ELi1ELi1ELi2EEEENST_IJLi2ELi1ELi128ELi1EEEENST_IJLi1ELi2ELi0ELi3EEEES1Z_NST_IJLi4ELi1ELi1ELi2EEEES1Z_NST_IJLi1ELi1ELi1ELi2EEEES1X_S1Y_S1Z_S1Z_S20_S1Z_S21_NST_IJLi0ELi1ELi2ELi3ELi4ELi5EEEELi5ELi4EEEDF16_NS5_IJPKDF16_EEEDF16_S8_S8_S9_NSB_INS5_IJSE_SG_SI_SI_SG_SG_SK_SK_SG_SN_SN_SP_SP_SR_SG_SG_NSQ_INS5_IJiNS_17integral_constantIiLi128EEEEEELb0EEENSF_INS27_IiLi2EEEEEEEENS5_IJSU_SV_SW_SX_SY_SZ_S10_S11_S12_S13_S14_S15_S16_S17_S18_NST_IJLi19EEEES1G_NST_IJLi20EEEEEEENS5_IJS1A_SZ_S10_S11_S12_S1B_S1C_S1D_S1E_S15_S16_S18_S17_S1F_S1G_NST_IJLi22EEEENST_IJLi23ELi24EEEENST_IJLi25EEEEEEENST_IJLi22ELi23ELi24ELi25EEEElEENSB_INS5_IJSR_SP_SP_SR_SG_SG_S2A_S2C_EEENS5_IJSU_SV_SW_SY_SX_SZ_S11_S10_EEENS5_IJS1M_SX_SY_S1N_S11_S12_NST_IJLi9ELi10EEEENST_IJLi11EEEEEEENST_IJLi8ELi9ELi10ELi11EEEElEENS5_IJNSB_INS5_IJSK_SP_SP_NSQ_INS5_IJiS2B_NS27_IiLi64EEEEEELb0EEES2W_EEENS5_IJSU_SV_SW_SX_SY_EEENS5_IJS1M_SX_SY_NST_IJLi5ELi6ELi7EEEENST_IJLi8ELi9ELi10EEEEEEENST_IJLi5ELi6ELi7ELi8ELi9ELi10EEEElEEEEES33_NS_31BlockToCTileMap_M00_N00_M01_N01ILi128ELi128ES1V_Lb0EEENS1_30ComputePtrOffsetOfStridedBatchILi1ELi1ELi1EvEELb0ELb0EEEvPKT0_S3B_T1_PT2_T3_T4_T5_iT6_T7_T8_T9_T10_T11_,comdat
.Lfunc_end8:
	.size	_ZN2ck16tensor_operation6device12_GLOBAL__N_137kernel_grouped_conv_fwd_dl_multiple_dINS_32GridwiseGemmDlMultipleD_km_kn_mnILi256EDF16_fNS_5TupleIJDF16_EEEDF16_NS0_12element_wise11PassThroughES8_NS7_7AddReluELNS_25InMemoryDataOperationEnumE0ENS_16TensorDescriptorINS5_IJNS_5EmbedINS5_IJiiiiEEESD_Lb0EEENS_11PassThroughIiEENS_3PadIiiiLb0EEESI_SG_SG_NSC_INS5_IJiiEEESJ_Lb0EEESK_SG_NS_23Merge_v2_magic_divisionINS5_IJiiiEEEEESN_NS_8RightPadIiiLb0EEESP_NS_7UnMergeISJ_Lb0EEESG_EEENS5_IJNS_8SequenceIJLi0EEEENST_IJLi1EEEENST_IJLi2EEEENST_IJLi3EEEENST_IJLi4EEEENST_IJLi5EEEENST_IJLi6EEEENST_IJLi7EEEENST_IJLi8EEEENST_IJLi9ELi11ELi13EEEENST_IJLi10ELi12ELi14EEEENST_IJLi15EEEENST_IJLi16EEEENST_IJLi18EEEENST_IJLi17EEEEEEENS5_IJNST_IJLi1ELi2ELi3ELi4EEEESZ_S10_S11_S12_NST_IJLi9EEEENST_IJLi10ELi11EEEENST_IJLi12ELi13EEEENST_IJLi14EEEES15_S16_S18_S17_NST_IJLi19ELi20EEEENST_IJLi21EEEEEEENST_IJLi19ELi21ELi20EEEElEENSB_INS5_IJSR_SP_SP_SR_SG_EEENS5_IJSU_SV_SW_SY_SX_EEENS5_IJNST_IJLi1ELi2EEEESX_SY_NST_IJLi5ELi6EEEES11_EEENST_IJLi5ELi7ELi6EEEElEENSB_INS5_IJSK_SP_SP_EEENS5_IJSU_SV_SW_EEENS5_IJS1M_SX_SY_EEENST_IJLi3ELi4EEEElEELi128ELi128ELi16ELi2ELi4ELi4ELi1ENST_IJLi8ELi2EEEES1W_NST_IJLi8ELi1ELi1ELi2EEEENST_IJLi2ELi1ELi128ELi1EEEENST_IJLi1ELi2ELi0ELi3EEEES1Z_NST_IJLi4ELi1ELi1ELi2EEEES1Z_NST_IJLi1ELi1ELi1ELi2EEEES1X_S1Y_S1Z_S1Z_S20_S1Z_S21_NST_IJLi0ELi1ELi2ELi3ELi4ELi5EEEELi5ELi4EEEDF16_NS5_IJPKDF16_EEEDF16_S8_S8_S9_NSB_INS5_IJSE_SG_SI_SI_SG_SG_SK_SK_SG_SN_SN_SP_SP_SR_SG_SG_NSQ_INS5_IJiNS_17integral_constantIiLi128EEEEEELb0EEENSF_INS27_IiLi2EEEEEEEENS5_IJSU_SV_SW_SX_SY_SZ_S10_S11_S12_S13_S14_S15_S16_S17_S18_NST_IJLi19EEEES1G_NST_IJLi20EEEEEEENS5_IJS1A_SZ_S10_S11_S12_S1B_S1C_S1D_S1E_S15_S16_S18_S17_S1F_S1G_NST_IJLi22EEEENST_IJLi23ELi24EEEENST_IJLi25EEEEEEENST_IJLi22ELi23ELi24ELi25EEEElEENSB_INS5_IJSR_SP_SP_SR_SG_SG_S2A_S2C_EEENS5_IJSU_SV_SW_SY_SX_SZ_S11_S10_EEENS5_IJS1M_SX_SY_S1N_S11_S12_NST_IJLi9ELi10EEEENST_IJLi11EEEEEEENST_IJLi8ELi9ELi10ELi11EEEElEENS5_IJNSB_INS5_IJSK_SP_SP_NSQ_INS5_IJiS2B_NS27_IiLi64EEEEEELb0EEES2W_EEENS5_IJSU_SV_SW_SX_SY_EEENS5_IJS1M_SX_SY_NST_IJLi5ELi6ELi7EEEENST_IJLi8ELi9ELi10EEEEEEENST_IJLi5ELi6ELi7ELi8ELi9ELi10EEEElEEEEES33_NS_31BlockToCTileMap_M00_N00_M01_N01ILi128ELi128ES1V_Lb0EEENS1_30ComputePtrOffsetOfStridedBatchILi1ELi1ELi1EvEELb0ELb0EEEvPKT0_S3B_T1_PT2_T3_T4_T5_iT6_T7_T8_T9_T10_T11_, .Lfunc_end8-_ZN2ck16tensor_operation6device12_GLOBAL__N_137kernel_grouped_conv_fwd_dl_multiple_dINS_32GridwiseGemmDlMultipleD_km_kn_mnILi256EDF16_fNS_5TupleIJDF16_EEEDF16_NS0_12element_wise11PassThroughES8_NS7_7AddReluELNS_25InMemoryDataOperationEnumE0ENS_16TensorDescriptorINS5_IJNS_5EmbedINS5_IJiiiiEEESD_Lb0EEENS_11PassThroughIiEENS_3PadIiiiLb0EEESI_SG_SG_NSC_INS5_IJiiEEESJ_Lb0EEESK_SG_NS_23Merge_v2_magic_divisionINS5_IJiiiEEEEESN_NS_8RightPadIiiLb0EEESP_NS_7UnMergeISJ_Lb0EEESG_EEENS5_IJNS_8SequenceIJLi0EEEENST_IJLi1EEEENST_IJLi2EEEENST_IJLi3EEEENST_IJLi4EEEENST_IJLi5EEEENST_IJLi6EEEENST_IJLi7EEEENST_IJLi8EEEENST_IJLi9ELi11ELi13EEEENST_IJLi10ELi12ELi14EEEENST_IJLi15EEEENST_IJLi16EEEENST_IJLi18EEEENST_IJLi17EEEEEEENS5_IJNST_IJLi1ELi2ELi3ELi4EEEESZ_S10_S11_S12_NST_IJLi9EEEENST_IJLi10ELi11EEEENST_IJLi12ELi13EEEENST_IJLi14EEEES15_S16_S18_S17_NST_IJLi19ELi20EEEENST_IJLi21EEEEEEENST_IJLi19ELi21ELi20EEEElEENSB_INS5_IJSR_SP_SP_SR_SG_EEENS5_IJSU_SV_SW_SY_SX_EEENS5_IJNST_IJLi1ELi2EEEESX_SY_NST_IJLi5ELi6EEEES11_EEENST_IJLi5ELi7ELi6EEEElEENSB_INS5_IJSK_SP_SP_EEENS5_IJSU_SV_SW_EEENS5_IJS1M_SX_SY_EEENST_IJLi3ELi4EEEElEELi128ELi128ELi16ELi2ELi4ELi4ELi1ENST_IJLi8ELi2EEEES1W_NST_IJLi8ELi1ELi1ELi2EEEENST_IJLi2ELi1ELi128ELi1EEEENST_IJLi1ELi2ELi0ELi3EEEES1Z_NST_IJLi4ELi1ELi1ELi2EEEES1Z_NST_IJLi1ELi1ELi1ELi2EEEES1X_S1Y_S1Z_S1Z_S20_S1Z_S21_NST_IJLi0ELi1ELi2ELi3ELi4ELi5EEEELi5ELi4EEEDF16_NS5_IJPKDF16_EEEDF16_S8_S8_S9_NSB_INS5_IJSE_SG_SI_SI_SG_SG_SK_SK_SG_SN_SN_SP_SP_SR_SG_SG_NSQ_INS5_IJiNS_17integral_constantIiLi128EEEEEELb0EEENSF_INS27_IiLi2EEEEEEEENS5_IJSU_SV_SW_SX_SY_SZ_S10_S11_S12_S13_S14_S15_S16_S17_S18_NST_IJLi19EEEES1G_NST_IJLi20EEEEEEENS5_IJS1A_SZ_S10_S11_S12_S1B_S1C_S1D_S1E_S15_S16_S18_S17_S1F_S1G_NST_IJLi22EEEENST_IJLi23ELi24EEEENST_IJLi25EEEEEEENST_IJLi22ELi23ELi24ELi25EEEElEENSB_INS5_IJSR_SP_SP_SR_SG_SG_S2A_S2C_EEENS5_IJSU_SV_SW_SY_SX_SZ_S11_S10_EEENS5_IJS1M_SX_SY_S1N_S11_S12_NST_IJLi9ELi10EEEENST_IJLi11EEEEEEENST_IJLi8ELi9ELi10ELi11EEEElEENS5_IJNSB_INS5_IJSK_SP_SP_NSQ_INS5_IJiS2B_NS27_IiLi64EEEEEELb0EEES2W_EEENS5_IJSU_SV_SW_SX_SY_EEENS5_IJS1M_SX_SY_NST_IJLi5ELi6ELi7EEEENST_IJLi8ELi9ELi10EEEEEEENST_IJLi5ELi6ELi7ELi8ELi9ELi10EEEElEEEEES33_NS_31BlockToCTileMap_M00_N00_M01_N01ILi128ELi128ES1V_Lb0EEENS1_30ComputePtrOffsetOfStridedBatchILi1ELi1ELi1EvEELb0ELb0EEEvPKT0_S3B_T1_PT2_T3_T4_T5_iT6_T7_T8_T9_T10_T11_
                                        ; -- End function
	.set _ZN2ck16tensor_operation6device12_GLOBAL__N_137kernel_grouped_conv_fwd_dl_multiple_dINS_32GridwiseGemmDlMultipleD_km_kn_mnILi256EDF16_fNS_5TupleIJDF16_EEEDF16_NS0_12element_wise11PassThroughES8_NS7_7AddReluELNS_25InMemoryDataOperationEnumE0ENS_16TensorDescriptorINS5_IJNS_5EmbedINS5_IJiiiiEEESD_Lb0EEENS_11PassThroughIiEENS_3PadIiiiLb0EEESI_SG_SG_NSC_INS5_IJiiEEESJ_Lb0EEESK_SG_NS_23Merge_v2_magic_divisionINS5_IJiiiEEEEESN_NS_8RightPadIiiLb0EEESP_NS_7UnMergeISJ_Lb0EEESG_EEENS5_IJNS_8SequenceIJLi0EEEENST_IJLi1EEEENST_IJLi2EEEENST_IJLi3EEEENST_IJLi4EEEENST_IJLi5EEEENST_IJLi6EEEENST_IJLi7EEEENST_IJLi8EEEENST_IJLi9ELi11ELi13EEEENST_IJLi10ELi12ELi14EEEENST_IJLi15EEEENST_IJLi16EEEENST_IJLi18EEEENST_IJLi17EEEEEEENS5_IJNST_IJLi1ELi2ELi3ELi4EEEESZ_S10_S11_S12_NST_IJLi9EEEENST_IJLi10ELi11EEEENST_IJLi12ELi13EEEENST_IJLi14EEEES15_S16_S18_S17_NST_IJLi19ELi20EEEENST_IJLi21EEEEEEENST_IJLi19ELi21ELi20EEEElEENSB_INS5_IJSR_SP_SP_SR_SG_EEENS5_IJSU_SV_SW_SY_SX_EEENS5_IJNST_IJLi1ELi2EEEESX_SY_NST_IJLi5ELi6EEEES11_EEENST_IJLi5ELi7ELi6EEEElEENSB_INS5_IJSK_SP_SP_EEENS5_IJSU_SV_SW_EEENS5_IJS1M_SX_SY_EEENST_IJLi3ELi4EEEElEELi128ELi128ELi16ELi2ELi4ELi4ELi1ENST_IJLi8ELi2EEEES1W_NST_IJLi8ELi1ELi1ELi2EEEENST_IJLi2ELi1ELi128ELi1EEEENST_IJLi1ELi2ELi0ELi3EEEES1Z_NST_IJLi4ELi1ELi1ELi2EEEES1Z_NST_IJLi1ELi1ELi1ELi2EEEES1X_S1Y_S1Z_S1Z_S20_S1Z_S21_NST_IJLi0ELi1ELi2ELi3ELi4ELi5EEEELi5ELi4EEEDF16_NS5_IJPKDF16_EEEDF16_S8_S8_S9_NSB_INS5_IJSE_SG_SI_SI_SG_SG_SK_SK_SG_SN_SN_SP_SP_SR_SG_SG_NSQ_INS5_IJiNS_17integral_constantIiLi128EEEEEELb0EEENSF_INS27_IiLi2EEEEEEEENS5_IJSU_SV_SW_SX_SY_SZ_S10_S11_S12_S13_S14_S15_S16_S17_S18_NST_IJLi19EEEES1G_NST_IJLi20EEEEEEENS5_IJS1A_SZ_S10_S11_S12_S1B_S1C_S1D_S1E_S15_S16_S18_S17_S1F_S1G_NST_IJLi22EEEENST_IJLi23ELi24EEEENST_IJLi25EEEEEEENST_IJLi22ELi23ELi24ELi25EEEElEENSB_INS5_IJSR_SP_SP_SR_SG_SG_S2A_S2C_EEENS5_IJSU_SV_SW_SY_SX_SZ_S11_S10_EEENS5_IJS1M_SX_SY_S1N_S11_S12_NST_IJLi9ELi10EEEENST_IJLi11EEEEEEENST_IJLi8ELi9ELi10ELi11EEEElEENS5_IJNSB_INS5_IJSK_SP_SP_NSQ_INS5_IJiS2B_NS27_IiLi64EEEEEELb0EEES2W_EEENS5_IJSU_SV_SW_SX_SY_EEENS5_IJS1M_SX_SY_NST_IJLi5ELi6ELi7EEEENST_IJLi8ELi9ELi10EEEEEEENST_IJLi5ELi6ELi7ELi8ELi9ELi10EEEElEEEEES33_NS_31BlockToCTileMap_M00_N00_M01_N01ILi128ELi128ES1V_Lb0EEENS1_30ComputePtrOffsetOfStridedBatchILi1ELi1ELi1EvEELb0ELb0EEEvPKT0_S3B_T1_PT2_T3_T4_T5_iT6_T7_T8_T9_T10_T11_.num_vgpr, 94
	.set _ZN2ck16tensor_operation6device12_GLOBAL__N_137kernel_grouped_conv_fwd_dl_multiple_dINS_32GridwiseGemmDlMultipleD_km_kn_mnILi256EDF16_fNS_5TupleIJDF16_EEEDF16_NS0_12element_wise11PassThroughES8_NS7_7AddReluELNS_25InMemoryDataOperationEnumE0ENS_16TensorDescriptorINS5_IJNS_5EmbedINS5_IJiiiiEEESD_Lb0EEENS_11PassThroughIiEENS_3PadIiiiLb0EEESI_SG_SG_NSC_INS5_IJiiEEESJ_Lb0EEESK_SG_NS_23Merge_v2_magic_divisionINS5_IJiiiEEEEESN_NS_8RightPadIiiLb0EEESP_NS_7UnMergeISJ_Lb0EEESG_EEENS5_IJNS_8SequenceIJLi0EEEENST_IJLi1EEEENST_IJLi2EEEENST_IJLi3EEEENST_IJLi4EEEENST_IJLi5EEEENST_IJLi6EEEENST_IJLi7EEEENST_IJLi8EEEENST_IJLi9ELi11ELi13EEEENST_IJLi10ELi12ELi14EEEENST_IJLi15EEEENST_IJLi16EEEENST_IJLi18EEEENST_IJLi17EEEEEEENS5_IJNST_IJLi1ELi2ELi3ELi4EEEESZ_S10_S11_S12_NST_IJLi9EEEENST_IJLi10ELi11EEEENST_IJLi12ELi13EEEENST_IJLi14EEEES15_S16_S18_S17_NST_IJLi19ELi20EEEENST_IJLi21EEEEEEENST_IJLi19ELi21ELi20EEEElEENSB_INS5_IJSR_SP_SP_SR_SG_EEENS5_IJSU_SV_SW_SY_SX_EEENS5_IJNST_IJLi1ELi2EEEESX_SY_NST_IJLi5ELi6EEEES11_EEENST_IJLi5ELi7ELi6EEEElEENSB_INS5_IJSK_SP_SP_EEENS5_IJSU_SV_SW_EEENS5_IJS1M_SX_SY_EEENST_IJLi3ELi4EEEElEELi128ELi128ELi16ELi2ELi4ELi4ELi1ENST_IJLi8ELi2EEEES1W_NST_IJLi8ELi1ELi1ELi2EEEENST_IJLi2ELi1ELi128ELi1EEEENST_IJLi1ELi2ELi0ELi3EEEES1Z_NST_IJLi4ELi1ELi1ELi2EEEES1Z_NST_IJLi1ELi1ELi1ELi2EEEES1X_S1Y_S1Z_S1Z_S20_S1Z_S21_NST_IJLi0ELi1ELi2ELi3ELi4ELi5EEEELi5ELi4EEEDF16_NS5_IJPKDF16_EEEDF16_S8_S8_S9_NSB_INS5_IJSE_SG_SI_SI_SG_SG_SK_SK_SG_SN_SN_SP_SP_SR_SG_SG_NSQ_INS5_IJiNS_17integral_constantIiLi128EEEEEELb0EEENSF_INS27_IiLi2EEEEEEEENS5_IJSU_SV_SW_SX_SY_SZ_S10_S11_S12_S13_S14_S15_S16_S17_S18_NST_IJLi19EEEES1G_NST_IJLi20EEEEEEENS5_IJS1A_SZ_S10_S11_S12_S1B_S1C_S1D_S1E_S15_S16_S18_S17_S1F_S1G_NST_IJLi22EEEENST_IJLi23ELi24EEEENST_IJLi25EEEEEEENST_IJLi22ELi23ELi24ELi25EEEElEENSB_INS5_IJSR_SP_SP_SR_SG_SG_S2A_S2C_EEENS5_IJSU_SV_SW_SY_SX_SZ_S11_S10_EEENS5_IJS1M_SX_SY_S1N_S11_S12_NST_IJLi9ELi10EEEENST_IJLi11EEEEEEENST_IJLi8ELi9ELi10ELi11EEEElEENS5_IJNSB_INS5_IJSK_SP_SP_NSQ_INS5_IJiS2B_NS27_IiLi64EEEEEELb0EEES2W_EEENS5_IJSU_SV_SW_SX_SY_EEENS5_IJS1M_SX_SY_NST_IJLi5ELi6ELi7EEEENST_IJLi8ELi9ELi10EEEEEEENST_IJLi5ELi6ELi7ELi8ELi9ELi10EEEElEEEEES33_NS_31BlockToCTileMap_M00_N00_M01_N01ILi128ELi128ES1V_Lb0EEENS1_30ComputePtrOffsetOfStridedBatchILi1ELi1ELi1EvEELb0ELb0EEEvPKT0_S3B_T1_PT2_T3_T4_T5_iT6_T7_T8_T9_T10_T11_.num_agpr, 0
	.set _ZN2ck16tensor_operation6device12_GLOBAL__N_137kernel_grouped_conv_fwd_dl_multiple_dINS_32GridwiseGemmDlMultipleD_km_kn_mnILi256EDF16_fNS_5TupleIJDF16_EEEDF16_NS0_12element_wise11PassThroughES8_NS7_7AddReluELNS_25InMemoryDataOperationEnumE0ENS_16TensorDescriptorINS5_IJNS_5EmbedINS5_IJiiiiEEESD_Lb0EEENS_11PassThroughIiEENS_3PadIiiiLb0EEESI_SG_SG_NSC_INS5_IJiiEEESJ_Lb0EEESK_SG_NS_23Merge_v2_magic_divisionINS5_IJiiiEEEEESN_NS_8RightPadIiiLb0EEESP_NS_7UnMergeISJ_Lb0EEESG_EEENS5_IJNS_8SequenceIJLi0EEEENST_IJLi1EEEENST_IJLi2EEEENST_IJLi3EEEENST_IJLi4EEEENST_IJLi5EEEENST_IJLi6EEEENST_IJLi7EEEENST_IJLi8EEEENST_IJLi9ELi11ELi13EEEENST_IJLi10ELi12ELi14EEEENST_IJLi15EEEENST_IJLi16EEEENST_IJLi18EEEENST_IJLi17EEEEEEENS5_IJNST_IJLi1ELi2ELi3ELi4EEEESZ_S10_S11_S12_NST_IJLi9EEEENST_IJLi10ELi11EEEENST_IJLi12ELi13EEEENST_IJLi14EEEES15_S16_S18_S17_NST_IJLi19ELi20EEEENST_IJLi21EEEEEEENST_IJLi19ELi21ELi20EEEElEENSB_INS5_IJSR_SP_SP_SR_SG_EEENS5_IJSU_SV_SW_SY_SX_EEENS5_IJNST_IJLi1ELi2EEEESX_SY_NST_IJLi5ELi6EEEES11_EEENST_IJLi5ELi7ELi6EEEElEENSB_INS5_IJSK_SP_SP_EEENS5_IJSU_SV_SW_EEENS5_IJS1M_SX_SY_EEENST_IJLi3ELi4EEEElEELi128ELi128ELi16ELi2ELi4ELi4ELi1ENST_IJLi8ELi2EEEES1W_NST_IJLi8ELi1ELi1ELi2EEEENST_IJLi2ELi1ELi128ELi1EEEENST_IJLi1ELi2ELi0ELi3EEEES1Z_NST_IJLi4ELi1ELi1ELi2EEEES1Z_NST_IJLi1ELi1ELi1ELi2EEEES1X_S1Y_S1Z_S1Z_S20_S1Z_S21_NST_IJLi0ELi1ELi2ELi3ELi4ELi5EEEELi5ELi4EEEDF16_NS5_IJPKDF16_EEEDF16_S8_S8_S9_NSB_INS5_IJSE_SG_SI_SI_SG_SG_SK_SK_SG_SN_SN_SP_SP_SR_SG_SG_NSQ_INS5_IJiNS_17integral_constantIiLi128EEEEEELb0EEENSF_INS27_IiLi2EEEEEEEENS5_IJSU_SV_SW_SX_SY_SZ_S10_S11_S12_S13_S14_S15_S16_S17_S18_NST_IJLi19EEEES1G_NST_IJLi20EEEEEEENS5_IJS1A_SZ_S10_S11_S12_S1B_S1C_S1D_S1E_S15_S16_S18_S17_S1F_S1G_NST_IJLi22EEEENST_IJLi23ELi24EEEENST_IJLi25EEEEEEENST_IJLi22ELi23ELi24ELi25EEEElEENSB_INS5_IJSR_SP_SP_SR_SG_SG_S2A_S2C_EEENS5_IJSU_SV_SW_SY_SX_SZ_S11_S10_EEENS5_IJS1M_SX_SY_S1N_S11_S12_NST_IJLi9ELi10EEEENST_IJLi11EEEEEEENST_IJLi8ELi9ELi10ELi11EEEElEENS5_IJNSB_INS5_IJSK_SP_SP_NSQ_INS5_IJiS2B_NS27_IiLi64EEEEEELb0EEES2W_EEENS5_IJSU_SV_SW_SX_SY_EEENS5_IJS1M_SX_SY_NST_IJLi5ELi6ELi7EEEENST_IJLi8ELi9ELi10EEEEEEENST_IJLi5ELi6ELi7ELi8ELi9ELi10EEEElEEEEES33_NS_31BlockToCTileMap_M00_N00_M01_N01ILi128ELi128ES1V_Lb0EEENS1_30ComputePtrOffsetOfStridedBatchILi1ELi1ELi1EvEELb0ELb0EEEvPKT0_S3B_T1_PT2_T3_T4_T5_iT6_T7_T8_T9_T10_T11_.numbered_sgpr, 62
	.set _ZN2ck16tensor_operation6device12_GLOBAL__N_137kernel_grouped_conv_fwd_dl_multiple_dINS_32GridwiseGemmDlMultipleD_km_kn_mnILi256EDF16_fNS_5TupleIJDF16_EEEDF16_NS0_12element_wise11PassThroughES8_NS7_7AddReluELNS_25InMemoryDataOperationEnumE0ENS_16TensorDescriptorINS5_IJNS_5EmbedINS5_IJiiiiEEESD_Lb0EEENS_11PassThroughIiEENS_3PadIiiiLb0EEESI_SG_SG_NSC_INS5_IJiiEEESJ_Lb0EEESK_SG_NS_23Merge_v2_magic_divisionINS5_IJiiiEEEEESN_NS_8RightPadIiiLb0EEESP_NS_7UnMergeISJ_Lb0EEESG_EEENS5_IJNS_8SequenceIJLi0EEEENST_IJLi1EEEENST_IJLi2EEEENST_IJLi3EEEENST_IJLi4EEEENST_IJLi5EEEENST_IJLi6EEEENST_IJLi7EEEENST_IJLi8EEEENST_IJLi9ELi11ELi13EEEENST_IJLi10ELi12ELi14EEEENST_IJLi15EEEENST_IJLi16EEEENST_IJLi18EEEENST_IJLi17EEEEEEENS5_IJNST_IJLi1ELi2ELi3ELi4EEEESZ_S10_S11_S12_NST_IJLi9EEEENST_IJLi10ELi11EEEENST_IJLi12ELi13EEEENST_IJLi14EEEES15_S16_S18_S17_NST_IJLi19ELi20EEEENST_IJLi21EEEEEEENST_IJLi19ELi21ELi20EEEElEENSB_INS5_IJSR_SP_SP_SR_SG_EEENS5_IJSU_SV_SW_SY_SX_EEENS5_IJNST_IJLi1ELi2EEEESX_SY_NST_IJLi5ELi6EEEES11_EEENST_IJLi5ELi7ELi6EEEElEENSB_INS5_IJSK_SP_SP_EEENS5_IJSU_SV_SW_EEENS5_IJS1M_SX_SY_EEENST_IJLi3ELi4EEEElEELi128ELi128ELi16ELi2ELi4ELi4ELi1ENST_IJLi8ELi2EEEES1W_NST_IJLi8ELi1ELi1ELi2EEEENST_IJLi2ELi1ELi128ELi1EEEENST_IJLi1ELi2ELi0ELi3EEEES1Z_NST_IJLi4ELi1ELi1ELi2EEEES1Z_NST_IJLi1ELi1ELi1ELi2EEEES1X_S1Y_S1Z_S1Z_S20_S1Z_S21_NST_IJLi0ELi1ELi2ELi3ELi4ELi5EEEELi5ELi4EEEDF16_NS5_IJPKDF16_EEEDF16_S8_S8_S9_NSB_INS5_IJSE_SG_SI_SI_SG_SG_SK_SK_SG_SN_SN_SP_SP_SR_SG_SG_NSQ_INS5_IJiNS_17integral_constantIiLi128EEEEEELb0EEENSF_INS27_IiLi2EEEEEEEENS5_IJSU_SV_SW_SX_SY_SZ_S10_S11_S12_S13_S14_S15_S16_S17_S18_NST_IJLi19EEEES1G_NST_IJLi20EEEEEEENS5_IJS1A_SZ_S10_S11_S12_S1B_S1C_S1D_S1E_S15_S16_S18_S17_S1F_S1G_NST_IJLi22EEEENST_IJLi23ELi24EEEENST_IJLi25EEEEEEENST_IJLi22ELi23ELi24ELi25EEEElEENSB_INS5_IJSR_SP_SP_SR_SG_SG_S2A_S2C_EEENS5_IJSU_SV_SW_SY_SX_SZ_S11_S10_EEENS5_IJS1M_SX_SY_S1N_S11_S12_NST_IJLi9ELi10EEEENST_IJLi11EEEEEEENST_IJLi8ELi9ELi10ELi11EEEElEENS5_IJNSB_INS5_IJSK_SP_SP_NSQ_INS5_IJiS2B_NS27_IiLi64EEEEEELb0EEES2W_EEENS5_IJSU_SV_SW_SX_SY_EEENS5_IJS1M_SX_SY_NST_IJLi5ELi6ELi7EEEENST_IJLi8ELi9ELi10EEEEEEENST_IJLi5ELi6ELi7ELi8ELi9ELi10EEEElEEEEES33_NS_31BlockToCTileMap_M00_N00_M01_N01ILi128ELi128ES1V_Lb0EEENS1_30ComputePtrOffsetOfStridedBatchILi1ELi1ELi1EvEELb0ELb0EEEvPKT0_S3B_T1_PT2_T3_T4_T5_iT6_T7_T8_T9_T10_T11_.num_named_barrier, 0
	.set _ZN2ck16tensor_operation6device12_GLOBAL__N_137kernel_grouped_conv_fwd_dl_multiple_dINS_32GridwiseGemmDlMultipleD_km_kn_mnILi256EDF16_fNS_5TupleIJDF16_EEEDF16_NS0_12element_wise11PassThroughES8_NS7_7AddReluELNS_25InMemoryDataOperationEnumE0ENS_16TensorDescriptorINS5_IJNS_5EmbedINS5_IJiiiiEEESD_Lb0EEENS_11PassThroughIiEENS_3PadIiiiLb0EEESI_SG_SG_NSC_INS5_IJiiEEESJ_Lb0EEESK_SG_NS_23Merge_v2_magic_divisionINS5_IJiiiEEEEESN_NS_8RightPadIiiLb0EEESP_NS_7UnMergeISJ_Lb0EEESG_EEENS5_IJNS_8SequenceIJLi0EEEENST_IJLi1EEEENST_IJLi2EEEENST_IJLi3EEEENST_IJLi4EEEENST_IJLi5EEEENST_IJLi6EEEENST_IJLi7EEEENST_IJLi8EEEENST_IJLi9ELi11ELi13EEEENST_IJLi10ELi12ELi14EEEENST_IJLi15EEEENST_IJLi16EEEENST_IJLi18EEEENST_IJLi17EEEEEEENS5_IJNST_IJLi1ELi2ELi3ELi4EEEESZ_S10_S11_S12_NST_IJLi9EEEENST_IJLi10ELi11EEEENST_IJLi12ELi13EEEENST_IJLi14EEEES15_S16_S18_S17_NST_IJLi19ELi20EEEENST_IJLi21EEEEEEENST_IJLi19ELi21ELi20EEEElEENSB_INS5_IJSR_SP_SP_SR_SG_EEENS5_IJSU_SV_SW_SY_SX_EEENS5_IJNST_IJLi1ELi2EEEESX_SY_NST_IJLi5ELi6EEEES11_EEENST_IJLi5ELi7ELi6EEEElEENSB_INS5_IJSK_SP_SP_EEENS5_IJSU_SV_SW_EEENS5_IJS1M_SX_SY_EEENST_IJLi3ELi4EEEElEELi128ELi128ELi16ELi2ELi4ELi4ELi1ENST_IJLi8ELi2EEEES1W_NST_IJLi8ELi1ELi1ELi2EEEENST_IJLi2ELi1ELi128ELi1EEEENST_IJLi1ELi2ELi0ELi3EEEES1Z_NST_IJLi4ELi1ELi1ELi2EEEES1Z_NST_IJLi1ELi1ELi1ELi2EEEES1X_S1Y_S1Z_S1Z_S20_S1Z_S21_NST_IJLi0ELi1ELi2ELi3ELi4ELi5EEEELi5ELi4EEEDF16_NS5_IJPKDF16_EEEDF16_S8_S8_S9_NSB_INS5_IJSE_SG_SI_SI_SG_SG_SK_SK_SG_SN_SN_SP_SP_SR_SG_SG_NSQ_INS5_IJiNS_17integral_constantIiLi128EEEEEELb0EEENSF_INS27_IiLi2EEEEEEEENS5_IJSU_SV_SW_SX_SY_SZ_S10_S11_S12_S13_S14_S15_S16_S17_S18_NST_IJLi19EEEES1G_NST_IJLi20EEEEEEENS5_IJS1A_SZ_S10_S11_S12_S1B_S1C_S1D_S1E_S15_S16_S18_S17_S1F_S1G_NST_IJLi22EEEENST_IJLi23ELi24EEEENST_IJLi25EEEEEEENST_IJLi22ELi23ELi24ELi25EEEElEENSB_INS5_IJSR_SP_SP_SR_SG_SG_S2A_S2C_EEENS5_IJSU_SV_SW_SY_SX_SZ_S11_S10_EEENS5_IJS1M_SX_SY_S1N_S11_S12_NST_IJLi9ELi10EEEENST_IJLi11EEEEEEENST_IJLi8ELi9ELi10ELi11EEEElEENS5_IJNSB_INS5_IJSK_SP_SP_NSQ_INS5_IJiS2B_NS27_IiLi64EEEEEELb0EEES2W_EEENS5_IJSU_SV_SW_SX_SY_EEENS5_IJS1M_SX_SY_NST_IJLi5ELi6ELi7EEEENST_IJLi8ELi9ELi10EEEEEEENST_IJLi5ELi6ELi7ELi8ELi9ELi10EEEElEEEEES33_NS_31BlockToCTileMap_M00_N00_M01_N01ILi128ELi128ES1V_Lb0EEENS1_30ComputePtrOffsetOfStridedBatchILi1ELi1ELi1EvEELb0ELb0EEEvPKT0_S3B_T1_PT2_T3_T4_T5_iT6_T7_T8_T9_T10_T11_.private_seg_size, 0
	.set _ZN2ck16tensor_operation6device12_GLOBAL__N_137kernel_grouped_conv_fwd_dl_multiple_dINS_32GridwiseGemmDlMultipleD_km_kn_mnILi256EDF16_fNS_5TupleIJDF16_EEEDF16_NS0_12element_wise11PassThroughES8_NS7_7AddReluELNS_25InMemoryDataOperationEnumE0ENS_16TensorDescriptorINS5_IJNS_5EmbedINS5_IJiiiiEEESD_Lb0EEENS_11PassThroughIiEENS_3PadIiiiLb0EEESI_SG_SG_NSC_INS5_IJiiEEESJ_Lb0EEESK_SG_NS_23Merge_v2_magic_divisionINS5_IJiiiEEEEESN_NS_8RightPadIiiLb0EEESP_NS_7UnMergeISJ_Lb0EEESG_EEENS5_IJNS_8SequenceIJLi0EEEENST_IJLi1EEEENST_IJLi2EEEENST_IJLi3EEEENST_IJLi4EEEENST_IJLi5EEEENST_IJLi6EEEENST_IJLi7EEEENST_IJLi8EEEENST_IJLi9ELi11ELi13EEEENST_IJLi10ELi12ELi14EEEENST_IJLi15EEEENST_IJLi16EEEENST_IJLi18EEEENST_IJLi17EEEEEEENS5_IJNST_IJLi1ELi2ELi3ELi4EEEESZ_S10_S11_S12_NST_IJLi9EEEENST_IJLi10ELi11EEEENST_IJLi12ELi13EEEENST_IJLi14EEEES15_S16_S18_S17_NST_IJLi19ELi20EEEENST_IJLi21EEEEEEENST_IJLi19ELi21ELi20EEEElEENSB_INS5_IJSR_SP_SP_SR_SG_EEENS5_IJSU_SV_SW_SY_SX_EEENS5_IJNST_IJLi1ELi2EEEESX_SY_NST_IJLi5ELi6EEEES11_EEENST_IJLi5ELi7ELi6EEEElEENSB_INS5_IJSK_SP_SP_EEENS5_IJSU_SV_SW_EEENS5_IJS1M_SX_SY_EEENST_IJLi3ELi4EEEElEELi128ELi128ELi16ELi2ELi4ELi4ELi1ENST_IJLi8ELi2EEEES1W_NST_IJLi8ELi1ELi1ELi2EEEENST_IJLi2ELi1ELi128ELi1EEEENST_IJLi1ELi2ELi0ELi3EEEES1Z_NST_IJLi4ELi1ELi1ELi2EEEES1Z_NST_IJLi1ELi1ELi1ELi2EEEES1X_S1Y_S1Z_S1Z_S20_S1Z_S21_NST_IJLi0ELi1ELi2ELi3ELi4ELi5EEEELi5ELi4EEEDF16_NS5_IJPKDF16_EEEDF16_S8_S8_S9_NSB_INS5_IJSE_SG_SI_SI_SG_SG_SK_SK_SG_SN_SN_SP_SP_SR_SG_SG_NSQ_INS5_IJiNS_17integral_constantIiLi128EEEEEELb0EEENSF_INS27_IiLi2EEEEEEEENS5_IJSU_SV_SW_SX_SY_SZ_S10_S11_S12_S13_S14_S15_S16_S17_S18_NST_IJLi19EEEES1G_NST_IJLi20EEEEEEENS5_IJS1A_SZ_S10_S11_S12_S1B_S1C_S1D_S1E_S15_S16_S18_S17_S1F_S1G_NST_IJLi22EEEENST_IJLi23ELi24EEEENST_IJLi25EEEEEEENST_IJLi22ELi23ELi24ELi25EEEElEENSB_INS5_IJSR_SP_SP_SR_SG_SG_S2A_S2C_EEENS5_IJSU_SV_SW_SY_SX_SZ_S11_S10_EEENS5_IJS1M_SX_SY_S1N_S11_S12_NST_IJLi9ELi10EEEENST_IJLi11EEEEEEENST_IJLi8ELi9ELi10ELi11EEEElEENS5_IJNSB_INS5_IJSK_SP_SP_NSQ_INS5_IJiS2B_NS27_IiLi64EEEEEELb0EEES2W_EEENS5_IJSU_SV_SW_SX_SY_EEENS5_IJS1M_SX_SY_NST_IJLi5ELi6ELi7EEEENST_IJLi8ELi9ELi10EEEEEEENST_IJLi5ELi6ELi7ELi8ELi9ELi10EEEElEEEEES33_NS_31BlockToCTileMap_M00_N00_M01_N01ILi128ELi128ES1V_Lb0EEENS1_30ComputePtrOffsetOfStridedBatchILi1ELi1ELi1EvEELb0ELb0EEEvPKT0_S3B_T1_PT2_T3_T4_T5_iT6_T7_T8_T9_T10_T11_.uses_vcc, 1
	.set _ZN2ck16tensor_operation6device12_GLOBAL__N_137kernel_grouped_conv_fwd_dl_multiple_dINS_32GridwiseGemmDlMultipleD_km_kn_mnILi256EDF16_fNS_5TupleIJDF16_EEEDF16_NS0_12element_wise11PassThroughES8_NS7_7AddReluELNS_25InMemoryDataOperationEnumE0ENS_16TensorDescriptorINS5_IJNS_5EmbedINS5_IJiiiiEEESD_Lb0EEENS_11PassThroughIiEENS_3PadIiiiLb0EEESI_SG_SG_NSC_INS5_IJiiEEESJ_Lb0EEESK_SG_NS_23Merge_v2_magic_divisionINS5_IJiiiEEEEESN_NS_8RightPadIiiLb0EEESP_NS_7UnMergeISJ_Lb0EEESG_EEENS5_IJNS_8SequenceIJLi0EEEENST_IJLi1EEEENST_IJLi2EEEENST_IJLi3EEEENST_IJLi4EEEENST_IJLi5EEEENST_IJLi6EEEENST_IJLi7EEEENST_IJLi8EEEENST_IJLi9ELi11ELi13EEEENST_IJLi10ELi12ELi14EEEENST_IJLi15EEEENST_IJLi16EEEENST_IJLi18EEEENST_IJLi17EEEEEEENS5_IJNST_IJLi1ELi2ELi3ELi4EEEESZ_S10_S11_S12_NST_IJLi9EEEENST_IJLi10ELi11EEEENST_IJLi12ELi13EEEENST_IJLi14EEEES15_S16_S18_S17_NST_IJLi19ELi20EEEENST_IJLi21EEEEEEENST_IJLi19ELi21ELi20EEEElEENSB_INS5_IJSR_SP_SP_SR_SG_EEENS5_IJSU_SV_SW_SY_SX_EEENS5_IJNST_IJLi1ELi2EEEESX_SY_NST_IJLi5ELi6EEEES11_EEENST_IJLi5ELi7ELi6EEEElEENSB_INS5_IJSK_SP_SP_EEENS5_IJSU_SV_SW_EEENS5_IJS1M_SX_SY_EEENST_IJLi3ELi4EEEElEELi128ELi128ELi16ELi2ELi4ELi4ELi1ENST_IJLi8ELi2EEEES1W_NST_IJLi8ELi1ELi1ELi2EEEENST_IJLi2ELi1ELi128ELi1EEEENST_IJLi1ELi2ELi0ELi3EEEES1Z_NST_IJLi4ELi1ELi1ELi2EEEES1Z_NST_IJLi1ELi1ELi1ELi2EEEES1X_S1Y_S1Z_S1Z_S20_S1Z_S21_NST_IJLi0ELi1ELi2ELi3ELi4ELi5EEEELi5ELi4EEEDF16_NS5_IJPKDF16_EEEDF16_S8_S8_S9_NSB_INS5_IJSE_SG_SI_SI_SG_SG_SK_SK_SG_SN_SN_SP_SP_SR_SG_SG_NSQ_INS5_IJiNS_17integral_constantIiLi128EEEEEELb0EEENSF_INS27_IiLi2EEEEEEEENS5_IJSU_SV_SW_SX_SY_SZ_S10_S11_S12_S13_S14_S15_S16_S17_S18_NST_IJLi19EEEES1G_NST_IJLi20EEEEEEENS5_IJS1A_SZ_S10_S11_S12_S1B_S1C_S1D_S1E_S15_S16_S18_S17_S1F_S1G_NST_IJLi22EEEENST_IJLi23ELi24EEEENST_IJLi25EEEEEEENST_IJLi22ELi23ELi24ELi25EEEElEENSB_INS5_IJSR_SP_SP_SR_SG_SG_S2A_S2C_EEENS5_IJSU_SV_SW_SY_SX_SZ_S11_S10_EEENS5_IJS1M_SX_SY_S1N_S11_S12_NST_IJLi9ELi10EEEENST_IJLi11EEEEEEENST_IJLi8ELi9ELi10ELi11EEEElEENS5_IJNSB_INS5_IJSK_SP_SP_NSQ_INS5_IJiS2B_NS27_IiLi64EEEEEELb0EEES2W_EEENS5_IJSU_SV_SW_SX_SY_EEENS5_IJS1M_SX_SY_NST_IJLi5ELi6ELi7EEEENST_IJLi8ELi9ELi10EEEEEEENST_IJLi5ELi6ELi7ELi8ELi9ELi10EEEElEEEEES33_NS_31BlockToCTileMap_M00_N00_M01_N01ILi128ELi128ES1V_Lb0EEENS1_30ComputePtrOffsetOfStridedBatchILi1ELi1ELi1EvEELb0ELb0EEEvPKT0_S3B_T1_PT2_T3_T4_T5_iT6_T7_T8_T9_T10_T11_.uses_flat_scratch, 0
	.set _ZN2ck16tensor_operation6device12_GLOBAL__N_137kernel_grouped_conv_fwd_dl_multiple_dINS_32GridwiseGemmDlMultipleD_km_kn_mnILi256EDF16_fNS_5TupleIJDF16_EEEDF16_NS0_12element_wise11PassThroughES8_NS7_7AddReluELNS_25InMemoryDataOperationEnumE0ENS_16TensorDescriptorINS5_IJNS_5EmbedINS5_IJiiiiEEESD_Lb0EEENS_11PassThroughIiEENS_3PadIiiiLb0EEESI_SG_SG_NSC_INS5_IJiiEEESJ_Lb0EEESK_SG_NS_23Merge_v2_magic_divisionINS5_IJiiiEEEEESN_NS_8RightPadIiiLb0EEESP_NS_7UnMergeISJ_Lb0EEESG_EEENS5_IJNS_8SequenceIJLi0EEEENST_IJLi1EEEENST_IJLi2EEEENST_IJLi3EEEENST_IJLi4EEEENST_IJLi5EEEENST_IJLi6EEEENST_IJLi7EEEENST_IJLi8EEEENST_IJLi9ELi11ELi13EEEENST_IJLi10ELi12ELi14EEEENST_IJLi15EEEENST_IJLi16EEEENST_IJLi18EEEENST_IJLi17EEEEEEENS5_IJNST_IJLi1ELi2ELi3ELi4EEEESZ_S10_S11_S12_NST_IJLi9EEEENST_IJLi10ELi11EEEENST_IJLi12ELi13EEEENST_IJLi14EEEES15_S16_S18_S17_NST_IJLi19ELi20EEEENST_IJLi21EEEEEEENST_IJLi19ELi21ELi20EEEElEENSB_INS5_IJSR_SP_SP_SR_SG_EEENS5_IJSU_SV_SW_SY_SX_EEENS5_IJNST_IJLi1ELi2EEEESX_SY_NST_IJLi5ELi6EEEES11_EEENST_IJLi5ELi7ELi6EEEElEENSB_INS5_IJSK_SP_SP_EEENS5_IJSU_SV_SW_EEENS5_IJS1M_SX_SY_EEENST_IJLi3ELi4EEEElEELi128ELi128ELi16ELi2ELi4ELi4ELi1ENST_IJLi8ELi2EEEES1W_NST_IJLi8ELi1ELi1ELi2EEEENST_IJLi2ELi1ELi128ELi1EEEENST_IJLi1ELi2ELi0ELi3EEEES1Z_NST_IJLi4ELi1ELi1ELi2EEEES1Z_NST_IJLi1ELi1ELi1ELi2EEEES1X_S1Y_S1Z_S1Z_S20_S1Z_S21_NST_IJLi0ELi1ELi2ELi3ELi4ELi5EEEELi5ELi4EEEDF16_NS5_IJPKDF16_EEEDF16_S8_S8_S9_NSB_INS5_IJSE_SG_SI_SI_SG_SG_SK_SK_SG_SN_SN_SP_SP_SR_SG_SG_NSQ_INS5_IJiNS_17integral_constantIiLi128EEEEEELb0EEENSF_INS27_IiLi2EEEEEEEENS5_IJSU_SV_SW_SX_SY_SZ_S10_S11_S12_S13_S14_S15_S16_S17_S18_NST_IJLi19EEEES1G_NST_IJLi20EEEEEEENS5_IJS1A_SZ_S10_S11_S12_S1B_S1C_S1D_S1E_S15_S16_S18_S17_S1F_S1G_NST_IJLi22EEEENST_IJLi23ELi24EEEENST_IJLi25EEEEEEENST_IJLi22ELi23ELi24ELi25EEEElEENSB_INS5_IJSR_SP_SP_SR_SG_SG_S2A_S2C_EEENS5_IJSU_SV_SW_SY_SX_SZ_S11_S10_EEENS5_IJS1M_SX_SY_S1N_S11_S12_NST_IJLi9ELi10EEEENST_IJLi11EEEEEEENST_IJLi8ELi9ELi10ELi11EEEElEENS5_IJNSB_INS5_IJSK_SP_SP_NSQ_INS5_IJiS2B_NS27_IiLi64EEEEEELb0EEES2W_EEENS5_IJSU_SV_SW_SX_SY_EEENS5_IJS1M_SX_SY_NST_IJLi5ELi6ELi7EEEENST_IJLi8ELi9ELi10EEEEEEENST_IJLi5ELi6ELi7ELi8ELi9ELi10EEEElEEEEES33_NS_31BlockToCTileMap_M00_N00_M01_N01ILi128ELi128ES1V_Lb0EEENS1_30ComputePtrOffsetOfStridedBatchILi1ELi1ELi1EvEELb0ELb0EEEvPKT0_S3B_T1_PT2_T3_T4_T5_iT6_T7_T8_T9_T10_T11_.has_dyn_sized_stack, 0
	.set _ZN2ck16tensor_operation6device12_GLOBAL__N_137kernel_grouped_conv_fwd_dl_multiple_dINS_32GridwiseGemmDlMultipleD_km_kn_mnILi256EDF16_fNS_5TupleIJDF16_EEEDF16_NS0_12element_wise11PassThroughES8_NS7_7AddReluELNS_25InMemoryDataOperationEnumE0ENS_16TensorDescriptorINS5_IJNS_5EmbedINS5_IJiiiiEEESD_Lb0EEENS_11PassThroughIiEENS_3PadIiiiLb0EEESI_SG_SG_NSC_INS5_IJiiEEESJ_Lb0EEESK_SG_NS_23Merge_v2_magic_divisionINS5_IJiiiEEEEESN_NS_8RightPadIiiLb0EEESP_NS_7UnMergeISJ_Lb0EEESG_EEENS5_IJNS_8SequenceIJLi0EEEENST_IJLi1EEEENST_IJLi2EEEENST_IJLi3EEEENST_IJLi4EEEENST_IJLi5EEEENST_IJLi6EEEENST_IJLi7EEEENST_IJLi8EEEENST_IJLi9ELi11ELi13EEEENST_IJLi10ELi12ELi14EEEENST_IJLi15EEEENST_IJLi16EEEENST_IJLi18EEEENST_IJLi17EEEEEEENS5_IJNST_IJLi1ELi2ELi3ELi4EEEESZ_S10_S11_S12_NST_IJLi9EEEENST_IJLi10ELi11EEEENST_IJLi12ELi13EEEENST_IJLi14EEEES15_S16_S18_S17_NST_IJLi19ELi20EEEENST_IJLi21EEEEEEENST_IJLi19ELi21ELi20EEEElEENSB_INS5_IJSR_SP_SP_SR_SG_EEENS5_IJSU_SV_SW_SY_SX_EEENS5_IJNST_IJLi1ELi2EEEESX_SY_NST_IJLi5ELi6EEEES11_EEENST_IJLi5ELi7ELi6EEEElEENSB_INS5_IJSK_SP_SP_EEENS5_IJSU_SV_SW_EEENS5_IJS1M_SX_SY_EEENST_IJLi3ELi4EEEElEELi128ELi128ELi16ELi2ELi4ELi4ELi1ENST_IJLi8ELi2EEEES1W_NST_IJLi8ELi1ELi1ELi2EEEENST_IJLi2ELi1ELi128ELi1EEEENST_IJLi1ELi2ELi0ELi3EEEES1Z_NST_IJLi4ELi1ELi1ELi2EEEES1Z_NST_IJLi1ELi1ELi1ELi2EEEES1X_S1Y_S1Z_S1Z_S20_S1Z_S21_NST_IJLi0ELi1ELi2ELi3ELi4ELi5EEEELi5ELi4EEEDF16_NS5_IJPKDF16_EEEDF16_S8_S8_S9_NSB_INS5_IJSE_SG_SI_SI_SG_SG_SK_SK_SG_SN_SN_SP_SP_SR_SG_SG_NSQ_INS5_IJiNS_17integral_constantIiLi128EEEEEELb0EEENSF_INS27_IiLi2EEEEEEEENS5_IJSU_SV_SW_SX_SY_SZ_S10_S11_S12_S13_S14_S15_S16_S17_S18_NST_IJLi19EEEES1G_NST_IJLi20EEEEEEENS5_IJS1A_SZ_S10_S11_S12_S1B_S1C_S1D_S1E_S15_S16_S18_S17_S1F_S1G_NST_IJLi22EEEENST_IJLi23ELi24EEEENST_IJLi25EEEEEEENST_IJLi22ELi23ELi24ELi25EEEElEENSB_INS5_IJSR_SP_SP_SR_SG_SG_S2A_S2C_EEENS5_IJSU_SV_SW_SY_SX_SZ_S11_S10_EEENS5_IJS1M_SX_SY_S1N_S11_S12_NST_IJLi9ELi10EEEENST_IJLi11EEEEEEENST_IJLi8ELi9ELi10ELi11EEEElEENS5_IJNSB_INS5_IJSK_SP_SP_NSQ_INS5_IJiS2B_NS27_IiLi64EEEEEELb0EEES2W_EEENS5_IJSU_SV_SW_SX_SY_EEENS5_IJS1M_SX_SY_NST_IJLi5ELi6ELi7EEEENST_IJLi8ELi9ELi10EEEEEEENST_IJLi5ELi6ELi7ELi8ELi9ELi10EEEElEEEEES33_NS_31BlockToCTileMap_M00_N00_M01_N01ILi128ELi128ES1V_Lb0EEENS1_30ComputePtrOffsetOfStridedBatchILi1ELi1ELi1EvEELb0ELb0EEEvPKT0_S3B_T1_PT2_T3_T4_T5_iT6_T7_T8_T9_T10_T11_.has_recursion, 0
	.set _ZN2ck16tensor_operation6device12_GLOBAL__N_137kernel_grouped_conv_fwd_dl_multiple_dINS_32GridwiseGemmDlMultipleD_km_kn_mnILi256EDF16_fNS_5TupleIJDF16_EEEDF16_NS0_12element_wise11PassThroughES8_NS7_7AddReluELNS_25InMemoryDataOperationEnumE0ENS_16TensorDescriptorINS5_IJNS_5EmbedINS5_IJiiiiEEESD_Lb0EEENS_11PassThroughIiEENS_3PadIiiiLb0EEESI_SG_SG_NSC_INS5_IJiiEEESJ_Lb0EEESK_SG_NS_23Merge_v2_magic_divisionINS5_IJiiiEEEEESN_NS_8RightPadIiiLb0EEESP_NS_7UnMergeISJ_Lb0EEESG_EEENS5_IJNS_8SequenceIJLi0EEEENST_IJLi1EEEENST_IJLi2EEEENST_IJLi3EEEENST_IJLi4EEEENST_IJLi5EEEENST_IJLi6EEEENST_IJLi7EEEENST_IJLi8EEEENST_IJLi9ELi11ELi13EEEENST_IJLi10ELi12ELi14EEEENST_IJLi15EEEENST_IJLi16EEEENST_IJLi18EEEENST_IJLi17EEEEEEENS5_IJNST_IJLi1ELi2ELi3ELi4EEEESZ_S10_S11_S12_NST_IJLi9EEEENST_IJLi10ELi11EEEENST_IJLi12ELi13EEEENST_IJLi14EEEES15_S16_S18_S17_NST_IJLi19ELi20EEEENST_IJLi21EEEEEEENST_IJLi19ELi21ELi20EEEElEENSB_INS5_IJSR_SP_SP_SR_SG_EEENS5_IJSU_SV_SW_SY_SX_EEENS5_IJNST_IJLi1ELi2EEEESX_SY_NST_IJLi5ELi6EEEES11_EEENST_IJLi5ELi7ELi6EEEElEENSB_INS5_IJSK_SP_SP_EEENS5_IJSU_SV_SW_EEENS5_IJS1M_SX_SY_EEENST_IJLi3ELi4EEEElEELi128ELi128ELi16ELi2ELi4ELi4ELi1ENST_IJLi8ELi2EEEES1W_NST_IJLi8ELi1ELi1ELi2EEEENST_IJLi2ELi1ELi128ELi1EEEENST_IJLi1ELi2ELi0ELi3EEEES1Z_NST_IJLi4ELi1ELi1ELi2EEEES1Z_NST_IJLi1ELi1ELi1ELi2EEEES1X_S1Y_S1Z_S1Z_S20_S1Z_S21_NST_IJLi0ELi1ELi2ELi3ELi4ELi5EEEELi5ELi4EEEDF16_NS5_IJPKDF16_EEEDF16_S8_S8_S9_NSB_INS5_IJSE_SG_SI_SI_SG_SG_SK_SK_SG_SN_SN_SP_SP_SR_SG_SG_NSQ_INS5_IJiNS_17integral_constantIiLi128EEEEEELb0EEENSF_INS27_IiLi2EEEEEEEENS5_IJSU_SV_SW_SX_SY_SZ_S10_S11_S12_S13_S14_S15_S16_S17_S18_NST_IJLi19EEEES1G_NST_IJLi20EEEEEEENS5_IJS1A_SZ_S10_S11_S12_S1B_S1C_S1D_S1E_S15_S16_S18_S17_S1F_S1G_NST_IJLi22EEEENST_IJLi23ELi24EEEENST_IJLi25EEEEEEENST_IJLi22ELi23ELi24ELi25EEEElEENSB_INS5_IJSR_SP_SP_SR_SG_SG_S2A_S2C_EEENS5_IJSU_SV_SW_SY_SX_SZ_S11_S10_EEENS5_IJS1M_SX_SY_S1N_S11_S12_NST_IJLi9ELi10EEEENST_IJLi11EEEEEEENST_IJLi8ELi9ELi10ELi11EEEElEENS5_IJNSB_INS5_IJSK_SP_SP_NSQ_INS5_IJiS2B_NS27_IiLi64EEEEEELb0EEES2W_EEENS5_IJSU_SV_SW_SX_SY_EEENS5_IJS1M_SX_SY_NST_IJLi5ELi6ELi7EEEENST_IJLi8ELi9ELi10EEEEEEENST_IJLi5ELi6ELi7ELi8ELi9ELi10EEEElEEEEES33_NS_31BlockToCTileMap_M00_N00_M01_N01ILi128ELi128ES1V_Lb0EEENS1_30ComputePtrOffsetOfStridedBatchILi1ELi1ELi1EvEELb0ELb0EEEvPKT0_S3B_T1_PT2_T3_T4_T5_iT6_T7_T8_T9_T10_T11_.has_indirect_call, 0
	.section	.AMDGPU.csdata,"",@progbits
; Kernel info:
; codeLenInByte = 9260
; TotalNumSgprs: 68
; NumVgprs: 94
; NumAgprs: 0
; TotalNumVgprs: 94
; ScratchSize: 0
; MemoryBound: 0
; FloatMode: 240
; IeeeMode: 1
; LDSByteSize: 32768 bytes/workgroup (compile time only)
; SGPRBlocks: 12
; VGPRBlocks: 11
; NumSGPRsForWavesPerEU: 102
; NumVGPRsForWavesPerEU: 94
; AccumOffset: 96
; Occupancy: 5
; WaveLimiterHint : 1
; COMPUTE_PGM_RSRC2:SCRATCH_EN: 0
; COMPUTE_PGM_RSRC2:USER_SGPR: 2
; COMPUTE_PGM_RSRC2:TRAP_HANDLER: 0
; COMPUTE_PGM_RSRC2:TGID_X_EN: 1
; COMPUTE_PGM_RSRC2:TGID_Y_EN: 0
; COMPUTE_PGM_RSRC2:TGID_Z_EN: 0
; COMPUTE_PGM_RSRC2:TIDIG_COMP_CNT: 0
; COMPUTE_PGM_RSRC3_GFX90A:ACCUM_OFFSET: 23
; COMPUTE_PGM_RSRC3_GFX90A:TG_SPLIT: 0
	.section	.text._ZN2ck16tensor_operation6device12_GLOBAL__N_137kernel_grouped_conv_fwd_dl_multiple_dINS_32GridwiseGemmDlMultipleD_km_kn_mnILi256EDF16_fNS_5TupleIJDF16_EEEDF16_NS0_12element_wise11PassThroughES8_NS7_7AddReluELNS_25InMemoryDataOperationEnumE0ENS_16TensorDescriptorINS5_IJNS_5EmbedINS5_IJiiiiiEEESD_Lb0EEENS_11PassThroughIiEENS_3PadIiiiLb0EEESI_SI_SG_SG_NSC_INS5_IJiiEEESJ_Lb0EEESK_SK_SG_NS_23Merge_v2_magic_divisionINS5_IJiiiiEEEEESN_NS_8RightPadIiiLb0EEESP_NS_7UnMergeISJ_Lb0EEESG_EEENS5_IJNS_8SequenceIJLi0EEEENST_IJLi1EEEENST_IJLi2EEEENST_IJLi3EEEENST_IJLi4EEEENST_IJLi5EEEENST_IJLi6EEEENST_IJLi7EEEENST_IJLi8EEEENST_IJLi9EEEENST_IJLi10EEEENST_IJLi11ELi13ELi15ELi17EEEENST_IJLi12ELi14ELi16ELi18EEEENST_IJLi19EEEENST_IJLi20EEEENST_IJLi22EEEENST_IJLi21EEEEEEENS5_IJNST_IJLi1ELi2ELi3ELi4ELi5EEEES10_S11_S12_S13_S14_NST_IJLi11EEEENST_IJLi12ELi13EEEENST_IJLi14ELi15EEEENST_IJLi16ELi17EEEENST_IJLi18EEEES17_S18_S1A_S19_NST_IJLi23ELi24EEEENST_IJLi25EEEEEEENST_IJLi23ELi25ELi24EEEElEENSB_INS5_IJSR_SP_SP_SR_SG_EEENS5_IJSU_SV_SW_SY_SX_EEENS5_IJNST_IJLi1ELi2EEEESX_SY_NST_IJLi5ELi6EEEES11_EEENST_IJLi5ELi7ELi6EEEElEENSB_INS5_IJSK_SP_SP_EEENS5_IJSU_SV_SW_EEENS5_IJS1P_SX_SY_EEENST_IJLi3ELi4EEEElEELi128ELi128ELi16ELi2ELi4ELi4ELi1ENST_IJLi8ELi2EEEES1Z_NST_IJLi8ELi1ELi1ELi2EEEENST_IJLi2ELi1ELi128ELi1EEEENST_IJLi1ELi2ELi0ELi3EEEES22_NST_IJLi4ELi1ELi1ELi2EEEES22_NST_IJLi1ELi1ELi1ELi2EEEES20_S21_S22_S22_S23_S22_S24_NST_IJLi0ELi1ELi2ELi3ELi4ELi5EEEELi5ELi4EEEDF16_NS5_IJPKDF16_EEEDF16_S8_S8_S9_NSB_INS5_IJSE_SG_SI_SI_SI_SG_SG_SK_SK_SK_SG_SN_SN_SP_SP_SR_SG_SG_NSQ_INS5_IJiNS_17integral_constantIiLi128EEEEEELb0EEENSF_INS2A_IiLi2EEEEEEEENS5_IJSU_SV_SW_SX_SY_SZ_S10_S11_S12_S13_S14_S15_S16_S17_S18_S19_S1A_NST_IJLi23EEEES1J_NST_IJLi24EEEEEEENS5_IJS1C_S10_S11_S12_S13_S14_S1D_S1E_S1F_S1G_S1H_S17_S18_S1A_S19_S1I_S1J_NST_IJLi26EEEENST_IJLi27ELi28EEEENST_IJLi29EEEEEEENST_IJLi26ELi27ELi28ELi29EEEElEENSB_INS5_IJSR_SP_SP_SR_SG_SG_S2D_S2F_EEENS5_IJSU_SV_SW_SY_SX_SZ_S11_S10_EEENS5_IJS1P_SX_SY_S1Q_S11_S12_NST_IJLi9ELi10EEEES1D_EEENST_IJLi8ELi9ELi10ELi11EEEElEENS5_IJNSB_INS5_IJSK_SP_SP_NSQ_INS5_IJiS2E_NS2A_IiLi64EEEEEELb0EEES2Y_EEENS5_IJSU_SV_SW_SX_SY_EEENS5_IJS1P_SX_SY_NST_IJLi5ELi6ELi7EEEENST_IJLi8ELi9ELi10EEEEEEENST_IJLi5ELi6ELi7ELi8ELi9ELi10EEEElEEEEES35_NS_31BlockToCTileMap_M00_N00_M01_N01ILi128ELi128ES1Y_Lb0EEENS1_30ComputePtrOffsetOfStridedBatchILi1ELi1ELi1EvEELb1ELb1EEEvPKT0_S3D_T1_PT2_T3_T4_T5_iT6_T7_T8_T9_T10_T11_,"axG",@progbits,_ZN2ck16tensor_operation6device12_GLOBAL__N_137kernel_grouped_conv_fwd_dl_multiple_dINS_32GridwiseGemmDlMultipleD_km_kn_mnILi256EDF16_fNS_5TupleIJDF16_EEEDF16_NS0_12element_wise11PassThroughES8_NS7_7AddReluELNS_25InMemoryDataOperationEnumE0ENS_16TensorDescriptorINS5_IJNS_5EmbedINS5_IJiiiiiEEESD_Lb0EEENS_11PassThroughIiEENS_3PadIiiiLb0EEESI_SI_SG_SG_NSC_INS5_IJiiEEESJ_Lb0EEESK_SK_SG_NS_23Merge_v2_magic_divisionINS5_IJiiiiEEEEESN_NS_8RightPadIiiLb0EEESP_NS_7UnMergeISJ_Lb0EEESG_EEENS5_IJNS_8SequenceIJLi0EEEENST_IJLi1EEEENST_IJLi2EEEENST_IJLi3EEEENST_IJLi4EEEENST_IJLi5EEEENST_IJLi6EEEENST_IJLi7EEEENST_IJLi8EEEENST_IJLi9EEEENST_IJLi10EEEENST_IJLi11ELi13ELi15ELi17EEEENST_IJLi12ELi14ELi16ELi18EEEENST_IJLi19EEEENST_IJLi20EEEENST_IJLi22EEEENST_IJLi21EEEEEEENS5_IJNST_IJLi1ELi2ELi3ELi4ELi5EEEES10_S11_S12_S13_S14_NST_IJLi11EEEENST_IJLi12ELi13EEEENST_IJLi14ELi15EEEENST_IJLi16ELi17EEEENST_IJLi18EEEES17_S18_S1A_S19_NST_IJLi23ELi24EEEENST_IJLi25EEEEEEENST_IJLi23ELi25ELi24EEEElEENSB_INS5_IJSR_SP_SP_SR_SG_EEENS5_IJSU_SV_SW_SY_SX_EEENS5_IJNST_IJLi1ELi2EEEESX_SY_NST_IJLi5ELi6EEEES11_EEENST_IJLi5ELi7ELi6EEEElEENSB_INS5_IJSK_SP_SP_EEENS5_IJSU_SV_SW_EEENS5_IJS1P_SX_SY_EEENST_IJLi3ELi4EEEElEELi128ELi128ELi16ELi2ELi4ELi4ELi1ENST_IJLi8ELi2EEEES1Z_NST_IJLi8ELi1ELi1ELi2EEEENST_IJLi2ELi1ELi128ELi1EEEENST_IJLi1ELi2ELi0ELi3EEEES22_NST_IJLi4ELi1ELi1ELi2EEEES22_NST_IJLi1ELi1ELi1ELi2EEEES20_S21_S22_S22_S23_S22_S24_NST_IJLi0ELi1ELi2ELi3ELi4ELi5EEEELi5ELi4EEEDF16_NS5_IJPKDF16_EEEDF16_S8_S8_S9_NSB_INS5_IJSE_SG_SI_SI_SI_SG_SG_SK_SK_SK_SG_SN_SN_SP_SP_SR_SG_SG_NSQ_INS5_IJiNS_17integral_constantIiLi128EEEEEELb0EEENSF_INS2A_IiLi2EEEEEEEENS5_IJSU_SV_SW_SX_SY_SZ_S10_S11_S12_S13_S14_S15_S16_S17_S18_S19_S1A_NST_IJLi23EEEES1J_NST_IJLi24EEEEEEENS5_IJS1C_S10_S11_S12_S13_S14_S1D_S1E_S1F_S1G_S1H_S17_S18_S1A_S19_S1I_S1J_NST_IJLi26EEEENST_IJLi27ELi28EEEENST_IJLi29EEEEEEENST_IJLi26ELi27ELi28ELi29EEEElEENSB_INS5_IJSR_SP_SP_SR_SG_SG_S2D_S2F_EEENS5_IJSU_SV_SW_SY_SX_SZ_S11_S10_EEENS5_IJS1P_SX_SY_S1Q_S11_S12_NST_IJLi9ELi10EEEES1D_EEENST_IJLi8ELi9ELi10ELi11EEEElEENS5_IJNSB_INS5_IJSK_SP_SP_NSQ_INS5_IJiS2E_NS2A_IiLi64EEEEEELb0EEES2Y_EEENS5_IJSU_SV_SW_SX_SY_EEENS5_IJS1P_SX_SY_NST_IJLi5ELi6ELi7EEEENST_IJLi8ELi9ELi10EEEEEEENST_IJLi5ELi6ELi7ELi8ELi9ELi10EEEElEEEEES35_NS_31BlockToCTileMap_M00_N00_M01_N01ILi128ELi128ES1Y_Lb0EEENS1_30ComputePtrOffsetOfStridedBatchILi1ELi1ELi1EvEELb1ELb1EEEvPKT0_S3D_T1_PT2_T3_T4_T5_iT6_T7_T8_T9_T10_T11_,comdat
	.globl	_ZN2ck16tensor_operation6device12_GLOBAL__N_137kernel_grouped_conv_fwd_dl_multiple_dINS_32GridwiseGemmDlMultipleD_km_kn_mnILi256EDF16_fNS_5TupleIJDF16_EEEDF16_NS0_12element_wise11PassThroughES8_NS7_7AddReluELNS_25InMemoryDataOperationEnumE0ENS_16TensorDescriptorINS5_IJNS_5EmbedINS5_IJiiiiiEEESD_Lb0EEENS_11PassThroughIiEENS_3PadIiiiLb0EEESI_SI_SG_SG_NSC_INS5_IJiiEEESJ_Lb0EEESK_SK_SG_NS_23Merge_v2_magic_divisionINS5_IJiiiiEEEEESN_NS_8RightPadIiiLb0EEESP_NS_7UnMergeISJ_Lb0EEESG_EEENS5_IJNS_8SequenceIJLi0EEEENST_IJLi1EEEENST_IJLi2EEEENST_IJLi3EEEENST_IJLi4EEEENST_IJLi5EEEENST_IJLi6EEEENST_IJLi7EEEENST_IJLi8EEEENST_IJLi9EEEENST_IJLi10EEEENST_IJLi11ELi13ELi15ELi17EEEENST_IJLi12ELi14ELi16ELi18EEEENST_IJLi19EEEENST_IJLi20EEEENST_IJLi22EEEENST_IJLi21EEEEEEENS5_IJNST_IJLi1ELi2ELi3ELi4ELi5EEEES10_S11_S12_S13_S14_NST_IJLi11EEEENST_IJLi12ELi13EEEENST_IJLi14ELi15EEEENST_IJLi16ELi17EEEENST_IJLi18EEEES17_S18_S1A_S19_NST_IJLi23ELi24EEEENST_IJLi25EEEEEEENST_IJLi23ELi25ELi24EEEElEENSB_INS5_IJSR_SP_SP_SR_SG_EEENS5_IJSU_SV_SW_SY_SX_EEENS5_IJNST_IJLi1ELi2EEEESX_SY_NST_IJLi5ELi6EEEES11_EEENST_IJLi5ELi7ELi6EEEElEENSB_INS5_IJSK_SP_SP_EEENS5_IJSU_SV_SW_EEENS5_IJS1P_SX_SY_EEENST_IJLi3ELi4EEEElEELi128ELi128ELi16ELi2ELi4ELi4ELi1ENST_IJLi8ELi2EEEES1Z_NST_IJLi8ELi1ELi1ELi2EEEENST_IJLi2ELi1ELi128ELi1EEEENST_IJLi1ELi2ELi0ELi3EEEES22_NST_IJLi4ELi1ELi1ELi2EEEES22_NST_IJLi1ELi1ELi1ELi2EEEES20_S21_S22_S22_S23_S22_S24_NST_IJLi0ELi1ELi2ELi3ELi4ELi5EEEELi5ELi4EEEDF16_NS5_IJPKDF16_EEEDF16_S8_S8_S9_NSB_INS5_IJSE_SG_SI_SI_SI_SG_SG_SK_SK_SK_SG_SN_SN_SP_SP_SR_SG_SG_NSQ_INS5_IJiNS_17integral_constantIiLi128EEEEEELb0EEENSF_INS2A_IiLi2EEEEEEEENS5_IJSU_SV_SW_SX_SY_SZ_S10_S11_S12_S13_S14_S15_S16_S17_S18_S19_S1A_NST_IJLi23EEEES1J_NST_IJLi24EEEEEEENS5_IJS1C_S10_S11_S12_S13_S14_S1D_S1E_S1F_S1G_S1H_S17_S18_S1A_S19_S1I_S1J_NST_IJLi26EEEENST_IJLi27ELi28EEEENST_IJLi29EEEEEEENST_IJLi26ELi27ELi28ELi29EEEElEENSB_INS5_IJSR_SP_SP_SR_SG_SG_S2D_S2F_EEENS5_IJSU_SV_SW_SY_SX_SZ_S11_S10_EEENS5_IJS1P_SX_SY_S1Q_S11_S12_NST_IJLi9ELi10EEEES1D_EEENST_IJLi8ELi9ELi10ELi11EEEElEENS5_IJNSB_INS5_IJSK_SP_SP_NSQ_INS5_IJiS2E_NS2A_IiLi64EEEEEELb0EEES2Y_EEENS5_IJSU_SV_SW_SX_SY_EEENS5_IJS1P_SX_SY_NST_IJLi5ELi6ELi7EEEENST_IJLi8ELi9ELi10EEEEEEENST_IJLi5ELi6ELi7ELi8ELi9ELi10EEEElEEEEES35_NS_31BlockToCTileMap_M00_N00_M01_N01ILi128ELi128ES1Y_Lb0EEENS1_30ComputePtrOffsetOfStridedBatchILi1ELi1ELi1EvEELb1ELb1EEEvPKT0_S3D_T1_PT2_T3_T4_T5_iT6_T7_T8_T9_T10_T11_ ; -- Begin function _ZN2ck16tensor_operation6device12_GLOBAL__N_137kernel_grouped_conv_fwd_dl_multiple_dINS_32GridwiseGemmDlMultipleD_km_kn_mnILi256EDF16_fNS_5TupleIJDF16_EEEDF16_NS0_12element_wise11PassThroughES8_NS7_7AddReluELNS_25InMemoryDataOperationEnumE0ENS_16TensorDescriptorINS5_IJNS_5EmbedINS5_IJiiiiiEEESD_Lb0EEENS_11PassThroughIiEENS_3PadIiiiLb0EEESI_SI_SG_SG_NSC_INS5_IJiiEEESJ_Lb0EEESK_SK_SG_NS_23Merge_v2_magic_divisionINS5_IJiiiiEEEEESN_NS_8RightPadIiiLb0EEESP_NS_7UnMergeISJ_Lb0EEESG_EEENS5_IJNS_8SequenceIJLi0EEEENST_IJLi1EEEENST_IJLi2EEEENST_IJLi3EEEENST_IJLi4EEEENST_IJLi5EEEENST_IJLi6EEEENST_IJLi7EEEENST_IJLi8EEEENST_IJLi9EEEENST_IJLi10EEEENST_IJLi11ELi13ELi15ELi17EEEENST_IJLi12ELi14ELi16ELi18EEEENST_IJLi19EEEENST_IJLi20EEEENST_IJLi22EEEENST_IJLi21EEEEEEENS5_IJNST_IJLi1ELi2ELi3ELi4ELi5EEEES10_S11_S12_S13_S14_NST_IJLi11EEEENST_IJLi12ELi13EEEENST_IJLi14ELi15EEEENST_IJLi16ELi17EEEENST_IJLi18EEEES17_S18_S1A_S19_NST_IJLi23ELi24EEEENST_IJLi25EEEEEEENST_IJLi23ELi25ELi24EEEElEENSB_INS5_IJSR_SP_SP_SR_SG_EEENS5_IJSU_SV_SW_SY_SX_EEENS5_IJNST_IJLi1ELi2EEEESX_SY_NST_IJLi5ELi6EEEES11_EEENST_IJLi5ELi7ELi6EEEElEENSB_INS5_IJSK_SP_SP_EEENS5_IJSU_SV_SW_EEENS5_IJS1P_SX_SY_EEENST_IJLi3ELi4EEEElEELi128ELi128ELi16ELi2ELi4ELi4ELi1ENST_IJLi8ELi2EEEES1Z_NST_IJLi8ELi1ELi1ELi2EEEENST_IJLi2ELi1ELi128ELi1EEEENST_IJLi1ELi2ELi0ELi3EEEES22_NST_IJLi4ELi1ELi1ELi2EEEES22_NST_IJLi1ELi1ELi1ELi2EEEES20_S21_S22_S22_S23_S22_S24_NST_IJLi0ELi1ELi2ELi3ELi4ELi5EEEELi5ELi4EEEDF16_NS5_IJPKDF16_EEEDF16_S8_S8_S9_NSB_INS5_IJSE_SG_SI_SI_SI_SG_SG_SK_SK_SK_SG_SN_SN_SP_SP_SR_SG_SG_NSQ_INS5_IJiNS_17integral_constantIiLi128EEEEEELb0EEENSF_INS2A_IiLi2EEEEEEEENS5_IJSU_SV_SW_SX_SY_SZ_S10_S11_S12_S13_S14_S15_S16_S17_S18_S19_S1A_NST_IJLi23EEEES1J_NST_IJLi24EEEEEEENS5_IJS1C_S10_S11_S12_S13_S14_S1D_S1E_S1F_S1G_S1H_S17_S18_S1A_S19_S1I_S1J_NST_IJLi26EEEENST_IJLi27ELi28EEEENST_IJLi29EEEEEEENST_IJLi26ELi27ELi28ELi29EEEElEENSB_INS5_IJSR_SP_SP_SR_SG_SG_S2D_S2F_EEENS5_IJSU_SV_SW_SY_SX_SZ_S11_S10_EEENS5_IJS1P_SX_SY_S1Q_S11_S12_NST_IJLi9ELi10EEEES1D_EEENST_IJLi8ELi9ELi10ELi11EEEElEENS5_IJNSB_INS5_IJSK_SP_SP_NSQ_INS5_IJiS2E_NS2A_IiLi64EEEEEELb0EEES2Y_EEENS5_IJSU_SV_SW_SX_SY_EEENS5_IJS1P_SX_SY_NST_IJLi5ELi6ELi7EEEENST_IJLi8ELi9ELi10EEEEEEENST_IJLi5ELi6ELi7ELi8ELi9ELi10EEEElEEEEES35_NS_31BlockToCTileMap_M00_N00_M01_N01ILi128ELi128ES1Y_Lb0EEENS1_30ComputePtrOffsetOfStridedBatchILi1ELi1ELi1EvEELb1ELb1EEEvPKT0_S3D_T1_PT2_T3_T4_T5_iT6_T7_T8_T9_T10_T11_
	.p2align	8
	.type	_ZN2ck16tensor_operation6device12_GLOBAL__N_137kernel_grouped_conv_fwd_dl_multiple_dINS_32GridwiseGemmDlMultipleD_km_kn_mnILi256EDF16_fNS_5TupleIJDF16_EEEDF16_NS0_12element_wise11PassThroughES8_NS7_7AddReluELNS_25InMemoryDataOperationEnumE0ENS_16TensorDescriptorINS5_IJNS_5EmbedINS5_IJiiiiiEEESD_Lb0EEENS_11PassThroughIiEENS_3PadIiiiLb0EEESI_SI_SG_SG_NSC_INS5_IJiiEEESJ_Lb0EEESK_SK_SG_NS_23Merge_v2_magic_divisionINS5_IJiiiiEEEEESN_NS_8RightPadIiiLb0EEESP_NS_7UnMergeISJ_Lb0EEESG_EEENS5_IJNS_8SequenceIJLi0EEEENST_IJLi1EEEENST_IJLi2EEEENST_IJLi3EEEENST_IJLi4EEEENST_IJLi5EEEENST_IJLi6EEEENST_IJLi7EEEENST_IJLi8EEEENST_IJLi9EEEENST_IJLi10EEEENST_IJLi11ELi13ELi15ELi17EEEENST_IJLi12ELi14ELi16ELi18EEEENST_IJLi19EEEENST_IJLi20EEEENST_IJLi22EEEENST_IJLi21EEEEEEENS5_IJNST_IJLi1ELi2ELi3ELi4ELi5EEEES10_S11_S12_S13_S14_NST_IJLi11EEEENST_IJLi12ELi13EEEENST_IJLi14ELi15EEEENST_IJLi16ELi17EEEENST_IJLi18EEEES17_S18_S1A_S19_NST_IJLi23ELi24EEEENST_IJLi25EEEEEEENST_IJLi23ELi25ELi24EEEElEENSB_INS5_IJSR_SP_SP_SR_SG_EEENS5_IJSU_SV_SW_SY_SX_EEENS5_IJNST_IJLi1ELi2EEEESX_SY_NST_IJLi5ELi6EEEES11_EEENST_IJLi5ELi7ELi6EEEElEENSB_INS5_IJSK_SP_SP_EEENS5_IJSU_SV_SW_EEENS5_IJS1P_SX_SY_EEENST_IJLi3ELi4EEEElEELi128ELi128ELi16ELi2ELi4ELi4ELi1ENST_IJLi8ELi2EEEES1Z_NST_IJLi8ELi1ELi1ELi2EEEENST_IJLi2ELi1ELi128ELi1EEEENST_IJLi1ELi2ELi0ELi3EEEES22_NST_IJLi4ELi1ELi1ELi2EEEES22_NST_IJLi1ELi1ELi1ELi2EEEES20_S21_S22_S22_S23_S22_S24_NST_IJLi0ELi1ELi2ELi3ELi4ELi5EEEELi5ELi4EEEDF16_NS5_IJPKDF16_EEEDF16_S8_S8_S9_NSB_INS5_IJSE_SG_SI_SI_SI_SG_SG_SK_SK_SK_SG_SN_SN_SP_SP_SR_SG_SG_NSQ_INS5_IJiNS_17integral_constantIiLi128EEEEEELb0EEENSF_INS2A_IiLi2EEEEEEEENS5_IJSU_SV_SW_SX_SY_SZ_S10_S11_S12_S13_S14_S15_S16_S17_S18_S19_S1A_NST_IJLi23EEEES1J_NST_IJLi24EEEEEEENS5_IJS1C_S10_S11_S12_S13_S14_S1D_S1E_S1F_S1G_S1H_S17_S18_S1A_S19_S1I_S1J_NST_IJLi26EEEENST_IJLi27ELi28EEEENST_IJLi29EEEEEEENST_IJLi26ELi27ELi28ELi29EEEElEENSB_INS5_IJSR_SP_SP_SR_SG_SG_S2D_S2F_EEENS5_IJSU_SV_SW_SY_SX_SZ_S11_S10_EEENS5_IJS1P_SX_SY_S1Q_S11_S12_NST_IJLi9ELi10EEEES1D_EEENST_IJLi8ELi9ELi10ELi11EEEElEENS5_IJNSB_INS5_IJSK_SP_SP_NSQ_INS5_IJiS2E_NS2A_IiLi64EEEEEELb0EEES2Y_EEENS5_IJSU_SV_SW_SX_SY_EEENS5_IJS1P_SX_SY_NST_IJLi5ELi6ELi7EEEENST_IJLi8ELi9ELi10EEEEEEENST_IJLi5ELi6ELi7ELi8ELi9ELi10EEEElEEEEES35_NS_31BlockToCTileMap_M00_N00_M01_N01ILi128ELi128ES1Y_Lb0EEENS1_30ComputePtrOffsetOfStridedBatchILi1ELi1ELi1EvEELb1ELb1EEEvPKT0_S3D_T1_PT2_T3_T4_T5_iT6_T7_T8_T9_T10_T11_,@function
_ZN2ck16tensor_operation6device12_GLOBAL__N_137kernel_grouped_conv_fwd_dl_multiple_dINS_32GridwiseGemmDlMultipleD_km_kn_mnILi256EDF16_fNS_5TupleIJDF16_EEEDF16_NS0_12element_wise11PassThroughES8_NS7_7AddReluELNS_25InMemoryDataOperationEnumE0ENS_16TensorDescriptorINS5_IJNS_5EmbedINS5_IJiiiiiEEESD_Lb0EEENS_11PassThroughIiEENS_3PadIiiiLb0EEESI_SI_SG_SG_NSC_INS5_IJiiEEESJ_Lb0EEESK_SK_SG_NS_23Merge_v2_magic_divisionINS5_IJiiiiEEEEESN_NS_8RightPadIiiLb0EEESP_NS_7UnMergeISJ_Lb0EEESG_EEENS5_IJNS_8SequenceIJLi0EEEENST_IJLi1EEEENST_IJLi2EEEENST_IJLi3EEEENST_IJLi4EEEENST_IJLi5EEEENST_IJLi6EEEENST_IJLi7EEEENST_IJLi8EEEENST_IJLi9EEEENST_IJLi10EEEENST_IJLi11ELi13ELi15ELi17EEEENST_IJLi12ELi14ELi16ELi18EEEENST_IJLi19EEEENST_IJLi20EEEENST_IJLi22EEEENST_IJLi21EEEEEEENS5_IJNST_IJLi1ELi2ELi3ELi4ELi5EEEES10_S11_S12_S13_S14_NST_IJLi11EEEENST_IJLi12ELi13EEEENST_IJLi14ELi15EEEENST_IJLi16ELi17EEEENST_IJLi18EEEES17_S18_S1A_S19_NST_IJLi23ELi24EEEENST_IJLi25EEEEEEENST_IJLi23ELi25ELi24EEEElEENSB_INS5_IJSR_SP_SP_SR_SG_EEENS5_IJSU_SV_SW_SY_SX_EEENS5_IJNST_IJLi1ELi2EEEESX_SY_NST_IJLi5ELi6EEEES11_EEENST_IJLi5ELi7ELi6EEEElEENSB_INS5_IJSK_SP_SP_EEENS5_IJSU_SV_SW_EEENS5_IJS1P_SX_SY_EEENST_IJLi3ELi4EEEElEELi128ELi128ELi16ELi2ELi4ELi4ELi1ENST_IJLi8ELi2EEEES1Z_NST_IJLi8ELi1ELi1ELi2EEEENST_IJLi2ELi1ELi128ELi1EEEENST_IJLi1ELi2ELi0ELi3EEEES22_NST_IJLi4ELi1ELi1ELi2EEEES22_NST_IJLi1ELi1ELi1ELi2EEEES20_S21_S22_S22_S23_S22_S24_NST_IJLi0ELi1ELi2ELi3ELi4ELi5EEEELi5ELi4EEEDF16_NS5_IJPKDF16_EEEDF16_S8_S8_S9_NSB_INS5_IJSE_SG_SI_SI_SI_SG_SG_SK_SK_SK_SG_SN_SN_SP_SP_SR_SG_SG_NSQ_INS5_IJiNS_17integral_constantIiLi128EEEEEELb0EEENSF_INS2A_IiLi2EEEEEEEENS5_IJSU_SV_SW_SX_SY_SZ_S10_S11_S12_S13_S14_S15_S16_S17_S18_S19_S1A_NST_IJLi23EEEES1J_NST_IJLi24EEEEEEENS5_IJS1C_S10_S11_S12_S13_S14_S1D_S1E_S1F_S1G_S1H_S17_S18_S1A_S19_S1I_S1J_NST_IJLi26EEEENST_IJLi27ELi28EEEENST_IJLi29EEEEEEENST_IJLi26ELi27ELi28ELi29EEEElEENSB_INS5_IJSR_SP_SP_SR_SG_SG_S2D_S2F_EEENS5_IJSU_SV_SW_SY_SX_SZ_S11_S10_EEENS5_IJS1P_SX_SY_S1Q_S11_S12_NST_IJLi9ELi10EEEES1D_EEENST_IJLi8ELi9ELi10ELi11EEEElEENS5_IJNSB_INS5_IJSK_SP_SP_NSQ_INS5_IJiS2E_NS2A_IiLi64EEEEEELb0EEES2Y_EEENS5_IJSU_SV_SW_SX_SY_EEENS5_IJS1P_SX_SY_NST_IJLi5ELi6ELi7EEEENST_IJLi8ELi9ELi10EEEEEEENST_IJLi5ELi6ELi7ELi8ELi9ELi10EEEElEEEEES35_NS_31BlockToCTileMap_M00_N00_M01_N01ILi128ELi128ES1Y_Lb0EEENS1_30ComputePtrOffsetOfStridedBatchILi1ELi1ELi1EvEELb1ELb1EEEvPKT0_S3D_T1_PT2_T3_T4_T5_iT6_T7_T8_T9_T10_T11_: ; @_ZN2ck16tensor_operation6device12_GLOBAL__N_137kernel_grouped_conv_fwd_dl_multiple_dINS_32GridwiseGemmDlMultipleD_km_kn_mnILi256EDF16_fNS_5TupleIJDF16_EEEDF16_NS0_12element_wise11PassThroughES8_NS7_7AddReluELNS_25InMemoryDataOperationEnumE0ENS_16TensorDescriptorINS5_IJNS_5EmbedINS5_IJiiiiiEEESD_Lb0EEENS_11PassThroughIiEENS_3PadIiiiLb0EEESI_SI_SG_SG_NSC_INS5_IJiiEEESJ_Lb0EEESK_SK_SG_NS_23Merge_v2_magic_divisionINS5_IJiiiiEEEEESN_NS_8RightPadIiiLb0EEESP_NS_7UnMergeISJ_Lb0EEESG_EEENS5_IJNS_8SequenceIJLi0EEEENST_IJLi1EEEENST_IJLi2EEEENST_IJLi3EEEENST_IJLi4EEEENST_IJLi5EEEENST_IJLi6EEEENST_IJLi7EEEENST_IJLi8EEEENST_IJLi9EEEENST_IJLi10EEEENST_IJLi11ELi13ELi15ELi17EEEENST_IJLi12ELi14ELi16ELi18EEEENST_IJLi19EEEENST_IJLi20EEEENST_IJLi22EEEENST_IJLi21EEEEEEENS5_IJNST_IJLi1ELi2ELi3ELi4ELi5EEEES10_S11_S12_S13_S14_NST_IJLi11EEEENST_IJLi12ELi13EEEENST_IJLi14ELi15EEEENST_IJLi16ELi17EEEENST_IJLi18EEEES17_S18_S1A_S19_NST_IJLi23ELi24EEEENST_IJLi25EEEEEEENST_IJLi23ELi25ELi24EEEElEENSB_INS5_IJSR_SP_SP_SR_SG_EEENS5_IJSU_SV_SW_SY_SX_EEENS5_IJNST_IJLi1ELi2EEEESX_SY_NST_IJLi5ELi6EEEES11_EEENST_IJLi5ELi7ELi6EEEElEENSB_INS5_IJSK_SP_SP_EEENS5_IJSU_SV_SW_EEENS5_IJS1P_SX_SY_EEENST_IJLi3ELi4EEEElEELi128ELi128ELi16ELi2ELi4ELi4ELi1ENST_IJLi8ELi2EEEES1Z_NST_IJLi8ELi1ELi1ELi2EEEENST_IJLi2ELi1ELi128ELi1EEEENST_IJLi1ELi2ELi0ELi3EEEES22_NST_IJLi4ELi1ELi1ELi2EEEES22_NST_IJLi1ELi1ELi1ELi2EEEES20_S21_S22_S22_S23_S22_S24_NST_IJLi0ELi1ELi2ELi3ELi4ELi5EEEELi5ELi4EEEDF16_NS5_IJPKDF16_EEEDF16_S8_S8_S9_NSB_INS5_IJSE_SG_SI_SI_SI_SG_SG_SK_SK_SK_SG_SN_SN_SP_SP_SR_SG_SG_NSQ_INS5_IJiNS_17integral_constantIiLi128EEEEEELb0EEENSF_INS2A_IiLi2EEEEEEEENS5_IJSU_SV_SW_SX_SY_SZ_S10_S11_S12_S13_S14_S15_S16_S17_S18_S19_S1A_NST_IJLi23EEEES1J_NST_IJLi24EEEEEEENS5_IJS1C_S10_S11_S12_S13_S14_S1D_S1E_S1F_S1G_S1H_S17_S18_S1A_S19_S1I_S1J_NST_IJLi26EEEENST_IJLi27ELi28EEEENST_IJLi29EEEEEEENST_IJLi26ELi27ELi28ELi29EEEElEENSB_INS5_IJSR_SP_SP_SR_SG_SG_S2D_S2F_EEENS5_IJSU_SV_SW_SY_SX_SZ_S11_S10_EEENS5_IJS1P_SX_SY_S1Q_S11_S12_NST_IJLi9ELi10EEEES1D_EEENST_IJLi8ELi9ELi10ELi11EEEElEENS5_IJNSB_INS5_IJSK_SP_SP_NSQ_INS5_IJiS2E_NS2A_IiLi64EEEEEELb0EEES2Y_EEENS5_IJSU_SV_SW_SX_SY_EEENS5_IJS1P_SX_SY_NST_IJLi5ELi6ELi7EEEENST_IJLi8ELi9ELi10EEEEEEENST_IJLi5ELi6ELi7ELi8ELi9ELi10EEEElEEEEES35_NS_31BlockToCTileMap_M00_N00_M01_N01ILi128ELi128ES1Y_Lb0EEENS1_30ComputePtrOffsetOfStridedBatchILi1ELi1ELi1EvEELb1ELb1EEEvPKT0_S3D_T1_PT2_T3_T4_T5_iT6_T7_T8_T9_T10_T11_
; %bb.0:
	s_load_dwordx4 s[20:23], s[0:1], 0x0
	s_load_dwordx2 s[4:5], s[0:1], 0x18
                                        ; implicit-def: $vgpr182 : SGPR spill to VGPR lane
	s_load_dword s3, s[0:1], 0x24
	s_load_dwordx4 s[44:47], s[0:1], 0x3c
	s_load_dword s85, s[0:1], 0x4c
	s_load_dwordx2 s[66:67], s[0:1], 0x64
	s_load_dwordx4 s[12:15], s[0:1], 0x6c
	s_load_dwordx4 s[16:19], s[0:1], 0xb8
	s_load_dwordx2 s[28:29], s[0:1], 0xc8
	v_lshlrev_b32_e32 v2, 3, v0
	v_and_b32_e32 v24, 8, v2
	s_load_dwordx2 s[72:73], s[0:1], 0xa8
	s_waitcnt lgkmcnt(0)
	v_writelane_b32 v182, s4, 0
	s_mov_b32 s59, 0x20000
	v_lshrrev_b32_e32 v29, 5, v0
	v_writelane_b32 v182, s5, 1
	s_abs_i32 s4, s3
	v_cvt_f32_u32_e32 v1, s4
	s_load_dwordx4 s[48:51], s[0:1], 0xec
	s_load_dwordx2 s[68:69], s[0:1], 0xfc
	s_load_dword s5, s[0:1], 0x300
	s_sub_i32 s6, 0, s4
	s_load_dword s86, s[0:1], 0x104
	s_load_dwordx4 s[52:55], s[0:1], 0x10c
	s_waitcnt lgkmcnt(0)
	s_load_dword s51, s[0:1], 0x120
	s_load_dword s84, s[0:1], 0x12c
	v_rcp_iflag_f32_e32 v1, v1
	v_lshlrev_b32_e32 v31, 1, v0
	s_xor_b32 s3, s5, s3
	s_abs_i32 s5, s5
	v_mul_f32_e32 v1, 0x4f7ffffe, v1
	v_cvt_u32_f32_e32 v1, v1
	s_ashr_i32 s3, s3, 31
	v_lshlrev_b32_e32 v30, 6, v29
	v_and_b32_e32 v32, 0x1f8, v31
	v_readfirstlane_b32 s7, v1
	s_mul_i32 s6, s6, s7
	s_mul_hi_u32 s6, s7, s6
	s_add_i32 s7, s7, s6
	s_mul_hi_u32 s6, s5, s7
	s_mul_i32 s7, s6, s4
	s_sub_i32 s5, s5, s7
	s_add_i32 s7, s6, 1
	s_sub_i32 s8, s5, s4
	s_cmp_ge_u32 s5, s4
	s_cselect_b32 s6, s7, s6
	s_cselect_b32 s5, s8, s5
	s_add_i32 s7, s6, 1
	s_cmp_ge_u32 s5, s4
	s_cselect_b32 s4, s7, s6
	s_xor_b32 s4, s4, s3
	s_sub_i32 s30, s4, s3
	s_abs_i32 s31, s30
	v_cvt_f32_u32_e32 v1, s31
	s_load_dword s88, s[0:1], 0x13c
	s_load_dword s15, s[0:1], 0x148
	;; [unrolled: 1-line block ×8, first 2 shown]
	s_load_dwordx8 s[4:11], s[0:1], 0x29c
	s_waitcnt lgkmcnt(0)
	s_xor_b32 s5, s2, s30
	s_sub_i32 s30, 0, s31
	v_rcp_iflag_f32_e32 v1, v1
	s_abs_i32 s7, s2
	s_ashr_i32 s5, s5, 31
	s_load_dwordx4 s[24:27], s[0:1], 0x2c0
	s_load_dwordx8 s[36:43], s[0:1], 0x2d8
	v_mul_f32_e32 v1, 0x4f7ffffe, v1
	v_cvt_u32_f32_e32 v1, v1
	s_mul_hi_u32 s11, s11, s2
	v_mul_lo_u32 v27, s88, v24
	v_mul_hi_u32 v2, v27, s86
	v_readfirstlane_b32 s35, v1
	s_mul_i32 s30, s30, s35
	s_mul_hi_u32 s30, s35, s30
	s_add_i32 s35, s35, s30
	s_mul_hi_u32 s30, s7, s35
	s_mul_i32 s35, s30, s31
	s_sub_i32 s7, s7, s35
	s_add_i32 s35, s30, 1
	s_sub_i32 s55, s7, s31
	s_cmp_ge_u32 s7, s31
	s_cselect_b32 s30, s35, s30
	s_cselect_b32 s7, s55, s7
	s_add_i32 s35, s30, 1
	s_cmp_ge_u32 s7, s31
	s_cselect_b32 s7, s35, s30
	s_xor_b32 s7, s7, s5
	s_sub_i32 s89, s7, s5
	s_ashr_i32 s90, s89, 31
	s_waitcnt lgkmcnt(0)
	s_mul_i32 s5, s36, s90
	s_mul_hi_u32 s7, s36, s89
	s_add_i32 s5, s7, s5
	s_mul_i32 s7, s37, s89
	s_add_i32 s31, s5, s7
	s_mul_i32 s5, s38, s90
	s_mul_hi_u32 s7, s38, s89
	s_mul_i32 s30, s36, s89
	s_add_i32 s5, s7, s5
	s_mul_i32 s7, s39, s89
	s_add_i32 s37, s5, s7
	s_lshl_b64 s[30:31], s[30:31], 1
	s_mul_i32 s36, s38, s89
	s_add_u32 s56, s20, s30
	s_addc_u32 s7, s21, s31
	s_lshl_b64 s[20:21], s[36:37], 1
	s_add_u32 s36, s22, s20
	s_addc_u32 s5, s23, s21
	s_add_i32 s11, s2, s11
	s_lshr_b32 s11, s11, s27
	s_mul_hi_u32 s10, s11, s10
	s_add_i32 s10, s11, s10
	s_lshr_b32 s10, s10, s26
	s_mul_hi_u32 s9, s10, s9
	s_load_dword s30, s[0:1], 0x27c
	s_load_dword s31, s[0:1], 0x28c
	s_load_dwordx4 s[20:23], s[0:1], 0x298
	s_add_i32 s9, s10, s9
	s_lshr_b32 s9, s9, s25
	s_mul_i32 s6, s11, s6
	s_sub_i32 s2, s2, s6
	s_mul_hi_u32 s6, s9, s8
	s_add_i32 s6, s9, s6
	s_mul_i32 s4, s9, s4
	s_lshr_b32 s6, s6, s24
	s_sub_i32 s4, s10, s4
	s_waitcnt lgkmcnt(0)
	s_mul_i32 s6, s6, s20
	s_mul_i32 s10, s10, s22
	s_sub_i32 s6, s9, s6
	s_mul_i32 s4, s4, s31
	v_add_u32_e32 v2, v27, v2
	s_sub_i32 s8, s11, s10
	s_add_i32 s2, s2, s4
	s_mul_i32 s6, s6, s30
	v_lshrrev_b32_e32 v1, 1, v0
	v_lshrrev_b32_e32 v2, s54, v2
	s_add_i32 s4, s8, s6
	v_writelane_b32 v182, s2, 2
	v_lshl_or_b32 v25, s2, 7, v1
	s_load_dwordx4 s[8:11], s[0:1], 0xd8
	s_load_dword s2, s[0:1], 0xd0
	v_mul_hi_u32 v4, v2, s69
	v_add_u32_e32 v4, v2, v4
	v_lshrrev_b32_e32 v4, s53, v4
	v_mul_hi_u32 v9, v4, s68
	v_lshl_or_b32 v28, s4, 7, v1
	v_add_u32_e32 v9, v4, v9
	s_waitcnt lgkmcnt(0)
	v_mul_hi_u32 v3, v28, s2
	v_lshrrev_b32_e32 v9, s52, v9
	v_add_u32_e32 v3, v28, v3
	v_mul_lo_u32 v10, v9, s48
	v_lshrrev_b32_e32 v3, s10, v3
	v_sub_u32_e32 v10, v4, v10
	v_mul_lo_u32 v4, v4, s49
	v_mul_lo_u32 v12, v3, s18
	v_sub_u32_e32 v13, v2, v4
	s_load_dword s87, s[0:1], 0x70
	s_load_dwordx2 s[20:21], s[0:1], 0x88
	s_load_dwordx2 s[22:23], s[0:1], 0x98
	v_mul_lo_u32 v11, v2, s50
	v_sub_u32_e32 v12, v28, v12
	v_mul_lo_u32 v2, v13, s72
	s_and_b32 s57, s7, 0xffff
	v_mad_u64_u32 v[18:19], s[6:7], v12, s73, v[2:3]
	s_lshl_b32 s95, s88, 2
	s_waitcnt lgkmcnt(0)
	v_subrev_u32_e32 v2, s87, v18
	v_add_u32_e32 v114, s95, v27
	v_mul_lo_u32 v12, v2, s47
	v_mul_hi_u32 v2, v114, s86
	v_mul_hi_u32 v5, v3, s29
	v_add_u32_e32 v2, v114, v2
	v_add_u32_e32 v5, v3, v5
	v_lshrrev_b32_e32 v2, s54, v2
	v_lshrrev_b32_e32 v5, s9, v5
	v_mul_hi_u32 v4, s69, v2
	v_mul_hi_u32 v6, v5, s28
	v_add_u32_e32 v4, v2, v4
	v_add_u32_e32 v6, v5, v6
	v_lshrrev_b32_e32 v15, s53, v4
	v_lshrrev_b32_e32 v6, s8, v6
	v_mul_lo_u32 v8, v5, s17
	v_mul_lo_u32 v4, v15, s49
	s_load_dwordx4 s[60:63], s[0:1], 0x58
	s_load_dwordx4 s[8:11], s[0:1], 0x54
	v_mul_lo_u32 v7, v6, s16
	v_mul_lo_u32 v16, v2, s50
	v_sub_u32_e32 v104, v2, v4
	v_sub_u32_e32 v3, v3, v8
	v_mul_lo_u32 v2, v10, s22
	v_sub_u32_e32 v5, v5, v7
	v_mul_lo_u32 v4, v9, s20
	v_mad_u64_u32 v[22:23], s[6:7], v3, s23, v[2:3]
	v_sub_u32_e32 v11, v27, v11
	v_mad_u64_u32 v[20:21], s[6:7], v5, s21, v[4:5]
	v_subrev_u32_e32 v2, s66, v22
	v_mul_lo_u32 v14, v11, s85
	s_waitcnt lgkmcnt(0)
	v_subrev_u32_e32 v3, s60, v20
	v_mul_lo_u32 v2, v2, s46
	v_mul_lo_u32 v6, v6, s44
	v_sub_u32_e32 v105, v114, v16
	v_mul_lo_u32 v3, v3, s45
	v_add3_u32 v2, v12, v14, v2
	v_add3_u32 v6, v2, v6, v3
	v_sub_u32_e32 v7, v105, v11
	v_mul_hi_u32 v11, v15, s68
	s_lshl_b32 s58, s33, 1
	v_lshlrev_b32_e32 v2, 1, v6
	v_add_u32_e32 v11, v15, v11
	buffer_load_dwordx4 v[2:5], v2, s[56:59], 0 offen
	v_lshrrev_b32_e32 v115, s52, v11
	v_sub_u32_e32 v8, v104, v13
	v_mul_lo_u32 v11, v115, s48
	v_sub_u32_e32 v116, v15, v11
	v_mul_lo_u32 v19, v8, s72
	v_sub_u32_e32 v8, v115, v9
	v_sub_u32_e32 v9, v116, v10
	v_mul_lo_u32 v23, v8, s20
	v_mul_lo_u32 v21, v9, s22
	;; [unrolled: 1-line block ×6, first 2 shown]
	v_add3_u32 v7, v10, v7, v8
	v_add3_u32 v137, v7, v9, v6
	v_mul_lo_u32 v26, s13, v24
	v_lshlrev_b32_e32 v6, 1, v137
	v_mul_lo_u32 v113, v25, s19
	buffer_load_dwordx4 v[6:9], v6, s[56:59], 0 offen
	v_add_u32_e32 v14, v113, v26
	s_and_b32 s37, s5, 0xffff
	s_lshl_b32 s18, s3, 1
	s_mov_b32 s16, s36
	s_mov_b32 s17, s37
	;; [unrolled: 1-line block ×3, first 2 shown]
	v_lshlrev_b32_e32 v10, 1, v14
	buffer_load_dwordx4 v[10:13], v10, s[16:19], 0 offen
	s_lshl_b32 s91, s13, 2
	v_add_lshl_u32 v14, v14, s91, 1
	buffer_load_dwordx4 v[14:17], v14, s[16:19], 0 offen
	v_writelane_b32 v182, s4, 3
	s_mov_b32 s2, s45
	v_writelane_b32 v182, s2, 4
	s_mov_b32 s2, s46
	v_writelane_b32 v182, s2, 5
	s_load_dwordx2 s[62:63], s[0:1], 0x1d0
	s_load_dword s73, s[0:1], 0x1dc
	s_load_dword s2, s[0:1], 0x1e8
	s_sub_i32 s35, s12, s14
	v_cmp_gt_i32_e64 s[6:7], s35, v18
	v_cmp_le_i32_e64 s[4:5], s87, v18
	s_sub_i32 s65, s11, s67
	s_waitcnt lgkmcnt(0)
	v_writelane_b32 v182, s2, 6
	s_load_dwordx2 s[2:3], s[0:1], 0x210
	s_sub_i32 s61, s8, s61
	v_sub_u32_e32 v30, v32, v30
	v_lshlrev_b32_e32 v0, 2, v0
	v_cmp_gt_i32_e32 vcc, s51, v28
	s_waitcnt lgkmcnt(0)
	v_writelane_b32 v182, s2, 7
	v_and_or_b32 v108, v0, 4, v30
	v_lshlrev_b32_e32 v0, 3, v29
	v_writelane_b32 v182, s3, 8
	s_load_dwordx2 s[30:31], s[0:1], 0x220
	s_load_dword s33, s[0:1], 0x22c
	s_load_dword s2, s[0:1], 0x238
	v_add_u32_e32 v117, v18, v19
	v_and_or_b32 v109, v31, 4, v0
	v_add_u32_e32 v107, v22, v21
	v_add_u32_e32 v106, v20, v23
	s_waitcnt lgkmcnt(0)
	v_writelane_b32 v182, s2, 9
	s_load_dwordx2 s[2:3], s[0:1], 0x260
	v_add_u32_e32 v118, s91, v26
	v_lshlrev_b32_e32 v1, 2, v1
	v_lshl_or_b32 v112, v24, 9, v1
	v_or_b32_e32 v1, 32, v24
	s_waitcnt lgkmcnt(0)
	v_writelane_b32 v182, s2, 10
	v_mul_lo_u32 v120, s13, v1
	v_mul_lo_u32 v125, s88, v1
	v_writelane_b32 v182, s3, 11
	v_cmp_gt_i32_e64 s[2:3], s84, v27
	s_and_b64 s[2:3], s[6:7], s[2:3]
	s_and_b64 s[6:7], s[2:3], s[4:5]
	v_cmp_le_i32_e64 s[2:3], s66, v22
	v_cmp_gt_i32_e64 s[4:5], s65, v22
	s_and_b64 s[2:3], s[2:3], s[4:5]
	s_and_b64 s[6:7], s[6:7], s[2:3]
	v_cmp_le_i32_e64 s[2:3], s60, v20
	v_cmp_gt_i32_e64 s[4:5], s61, v20
	s_and_b64 s[2:3], s[2:3], s[4:5]
	s_and_b64 s[2:3], s[6:7], s[2:3]
	s_and_b64 s[2:3], vcc, s[2:3]
	v_cmp_gt_i32_e64 s[6:7], s35, v117
	v_cmp_le_i32_e64 s[4:5], s87, v117
	s_waitcnt vmcnt(3)
	v_cndmask_b32_e64 v0, 0, v5, s[2:3]
	v_cndmask_b32_e64 v4, 0, v4, s[2:3]
	;; [unrolled: 1-line block ×4, first 2 shown]
	v_cmp_gt_i32_e64 s[2:3], s84, v114
	s_and_b64 s[2:3], s[6:7], s[2:3]
	s_and_b64 s[6:7], s[2:3], s[4:5]
	v_cmp_le_i32_e64 s[2:3], s66, v107
	v_cmp_gt_i32_e64 s[4:5], s65, v107
	s_and_b64 s[2:3], s[2:3], s[4:5]
	s_and_b64 s[6:7], s[6:7], s[2:3]
	v_cmp_le_i32_e64 s[2:3], s60, v106
	v_cmp_gt_i32_e64 s[4:5], s61, v106
	s_and_b64 s[2:3], s[2:3], s[4:5]
	s_and_b64 s[2:3], s[6:7], s[2:3]
	s_and_b64 s[2:3], vcc, s[2:3]
	v_cmp_gt_i32_e64 s[4:5], s83, v26
	s_mov_b32 s98, s49
	s_mov_b32 s99, s50
	s_waitcnt vmcnt(2)
	v_cndmask_b32_e64 v5, 0, v9, s[2:3]
	v_cndmask_b32_e64 v8, 0, v8, s[2:3]
	;; [unrolled: 1-line block ×4, first 2 shown]
	v_cmp_gt_i32_e64 s[2:3], s34, v25
	s_and_b64 s[4:5], s[4:5], s[2:3]
	s_mov_b32 s97, 0
	s_mov_b32 s96, s69
	s_waitcnt vmcnt(1)
	v_cndmask_b32_e64 v9, 0, v13, s[4:5]
	v_cndmask_b32_e64 v12, 0, v12, s[4:5]
	;; [unrolled: 1-line block ×4, first 2 shown]
	v_cmp_gt_i32_e64 s[4:5], s83, v118
	s_and_b64 s[4:5], s[4:5], s[2:3]
	s_mov_b32 s69, s20
	s_waitcnt vmcnt(0)
	v_cndmask_b32_e64 v13, 0, v17, s[4:5]
	v_cndmask_b32_e64 v16, 0, v16, s[4:5]
	;; [unrolled: 1-line block ×4, first 2 shown]
	ds_write2st64_b32 v112, v2, v3 offset1:2
	ds_write2st64_b32 v112, v4, v0 offset0:4 offset1:6
	ds_write2st64_b32 v112, v6, v7 offset0:8 offset1:10
	;; [unrolled: 1-line block ×7, first 2 shown]
	v_or_b32_e32 v0, 36, v24
	v_or_b32_e32 v2, 20, v24
	;; [unrolled: 1-line block ×3, first 2 shown]
	v_mul_lo_u32 v119, s13, v0
	v_mul_lo_u32 v121, s13, v2
	;; [unrolled: 1-line block ×6, first 2 shown]
	s_mov_b32 s94, s22
	s_mov_b32 s38, s18
	;; [unrolled: 1-line block ×3, first 2 shown]
	v_lshlrev_b32_e32 v110, 2, v109
	v_lshlrev_b32_e32 v111, 2, v108
	s_sub_i32 s34, s15, 32
	s_mul_i32 s67, s13, 12
	s_lshl_b32 s64, s13, 5
	s_lshl_b32 s44, s13, 6
	;; [unrolled: 1-line block ×3, first 2 shown]
	s_sub_i32 s55, 0, s50
	v_mov_b32_e32 v64, 0
	v_mov_b32_e32 v61, 0
	;; [unrolled: 1-line block ×64, first 2 shown]
	s_mov_b32 s82, 0
	v_lshlrev_b32_e32 v127, 1, v119
	v_lshlrev_b32_e32 v128, 1, v113
	;; [unrolled: 1-line block ×5, first 2 shown]
	v_sub_u32_e32 v132, 0, v125
	v_mov_b32_e32 v133, v126
	v_mov_b32_e32 v134, v125
	;; [unrolled: 1-line block ×4, first 2 shown]
.LBB9_1:                                ; =>This Inner Loop Header: Depth=1
	v_mul_hi_u32 v0, s86, v136
	v_add_u32_e32 v9, s97, v123
	v_mul_hi_u32 v11, s86, v134
	v_add_u32_e32 v10, s97, v125
	;; [unrolled: 2-line block ×4, first 2 shown]
	s_add_i32 s20, s91, s67
	v_add_u32_e32 v14, v9, v0
	v_add_u32_e32 v11, v10, v11
	;; [unrolled: 1-line block ×4, first 2 shown]
	s_add_i32 s20, s20, s20
	v_lshrrev_b32_e32 v18, s54, v14
	v_lshrrev_b32_e32 v20, s54, v11
	v_cmp_gt_i32_e64 s[14:15], s84, v10
	v_lshrrev_b32_e32 v19, s54, v15
	v_lshrrev_b32_e32 v13, s54, v13
	v_add_u32_e32 v118, s20, v118
	v_mul_hi_u32 v22, s96, v18
	v_mad_u64_u32 v[10:11], s[20:21], s55, v20, v[10:11]
	v_cmp_gt_i32_e64 s[4:5], s83, v122
	v_cmp_gt_i32_e64 s[6:7], s83, v121
	;; [unrolled: 1-line block ×3, first 2 shown]
	v_mul_lo_u32 v21, s55, v18
	v_mad_u64_u32 v[14:15], s[20:21], s55, v19, v[8:9]
	v_mul_hi_u32 v8, s96, v19
	v_mul_hi_u32 v11, s96, v20
	;; [unrolled: 1-line block ×3, first 2 shown]
	v_mul_lo_u32 v24, v13, s99
	v_add_u32_e32 v22, v18, v22
	s_and_b64 s[8:9], s[2:3], s[4:5]
	s_and_b64 s[4:5], s[2:3], s[6:7]
	v_cmp_gt_i32_e64 s[6:7], s84, v12
	v_add_u32_e32 v25, v9, v21
	v_sub_u32_e32 v21, v21, v105
	v_add_u32_e32 v8, v19, v8
	v_add_u32_e32 v11, v20, v11
	;; [unrolled: 1-line block ×3, first 2 shown]
	v_sub_u32_e32 v105, v12, v24
	v_lshrrev_b32_e32 v12, s53, v22
	v_cmp_gt_i32_e64 s[18:19], s84, v9
	v_add_u32_e32 v9, v9, v21
	v_lshrrev_b32_e32 v8, s53, v8
	v_lshrrev_b32_e32 v11, s53, v11
	v_lshrrev_b32_e32 v21, s53, v23
	v_mul_lo_u32 v22, v12, s49
	v_mul_hi_u32 v23, v12, s68
	v_sub_u32_e32 v10, v10, v14
	v_sub_u32_e32 v14, v14, v25
	v_mul_hi_u32 v25, v8, s68
	v_mul_lo_u32 v26, v11, s49
	v_sub_u32_e32 v18, v18, v22
	v_add_u32_e32 v22, v12, v23
	v_mul_lo_u32 v15, v20, s50
	v_mul_lo_u32 v24, v8, s49
	v_mul_hi_u32 v27, v11, s68
	v_mul_hi_u32 v28, v21, s68
	v_mul_lo_u32 v29, v21, s98
	v_add_u32_e32 v23, v8, v25
	v_sub_u32_e32 v20, v20, v26
	v_sub_u32_e32 v26, v18, v104
	v_lshrrev_b32_e32 v22, s52, v22
	v_sub_u32_e32 v19, v19, v24
	v_add_u32_e32 v24, v11, v27
	v_add_u32_e32 v25, v21, v28
	v_lshrrev_b32_e32 v23, s52, v23
	v_sub_u32_e32 v104, v13, v29
	v_mul_lo_u32 v13, v26, s72
	v_mul_lo_u32 v26, v22, s48
	v_sub_u32_e32 v18, v19, v18
	v_lshrrev_b32_e32 v24, s52, v24
	v_sub_u32_e32 v27, v22, v115
	v_mul_lo_u32 v28, v23, s48
	v_lshrrev_b32_e32 v115, s52, v25
	v_sub_u32_e32 v12, v12, v26
	v_mul_lo_u32 v9, v9, s85
	v_sub_u32_e32 v19, v20, v19
	v_mul_lo_u32 v18, v18, s72
	v_sub_u32_e32 v22, v23, v22
	v_sub_u32_e32 v23, v24, v23
	;; [unrolled: 1-line block ×3, first 2 shown]
	v_mul_lo_u32 v25, v24, s48
	v_mul_lo_u32 v29, v13, s47
	;; [unrolled: 1-line block ×3, first 2 shown]
	v_sub_u32_e32 v8, v8, v28
	v_sub_u32_e32 v24, v115, v24
	v_add_u32_e32 v13, v13, v117
	v_sub_u32_e32 v28, v12, v116
	v_add3_u32 v15, v105, v15, v132
	v_mul_lo_u32 v19, v19, s72
	v_mul_lo_u32 v30, v18, s47
	;; [unrolled: 1-line block ×4, first 2 shown]
	v_sub_u32_e32 v11, v11, v25
	v_mul_lo_u32 v25, v115, s48
	v_add3_u32 v9, v9, v137, v29
	v_mul_lo_u32 v29, v26, s45
	v_sub_u32_e32 v12, v8, v12
	v_add_u32_e32 v26, v26, v106
	v_mul_lo_u32 v24, v24, s69
	v_cmp_le_i32_e64 s[20:21], s87, v13
	v_cmp_gt_i32_e64 s[22:23], s35, v13
	v_add_u32_e32 v13, v18, v13
	v_mul_lo_u32 v18, v28, s94
	v_mul_lo_u32 v14, v14, s85
	;; [unrolled: 1-line block ×7, first 2 shown]
	v_sub_u32_e32 v8, v11, v8
	v_sub_u32_e32 v116, v21, v25
	v_mul_lo_u32 v12, v12, s94
	v_mul_lo_u32 v21, v24, s45
	v_cmp_le_i32_e64 s[24:25], s60, v26
	v_cmp_gt_i32_e64 s[26:27], s61, v26
	v_add_u32_e32 v22, v22, v26
	s_and_b64 s[28:29], s[22:23], s[18:19]
	v_cmp_le_i32_e64 s[18:19], s87, v13
	v_cmp_gt_i32_e64 s[22:23], s35, v13
	v_add_u32_e32 v13, v19, v13
	v_mul_lo_u32 v19, v18, s46
	v_add_u32_e32 v26, v18, v107
	v_mul_lo_u32 v10, v10, s85
	v_mul_lo_u32 v32, v23, s45
	v_add3_u32 v14, v30, v14, v31
	v_mul_lo_u32 v8, v8, s94
	v_sub_u32_e32 v11, v116, v11
	v_mul_lo_u32 v25, v12, s46
	v_add3_u32 v18, v33, v15, v21
	s_and_b64 s[80:81], s[28:29], s[20:21]
	s_and_b64 s[74:75], s[22:23], s[16:17]
	;; [unrolled: 1-line block ×3, first 2 shown]
	v_cmp_le_i32_e64 s[16:17], s60, v22
	v_cmp_gt_i32_e64 s[20:21], s61, v22
	v_add_u32_e32 v21, v23, v22
	v_cmp_gt_i32_e64 s[24:25], s35, v13
	v_add_u32_e32 v117, v20, v13
	v_add3_u32 v9, v9, v29, v19
	v_add_u32_e32 v12, v12, v26
	v_add_u32_e32 v2, v131, v128
	;; [unrolled: 1-line block ×3, first 2 shown]
	v_add3_u32 v10, v27, v10, v32
	v_mul_lo_u32 v15, v8, s46
	v_mul_lo_u32 v11, v11, s94
	v_cmp_le_i32_e64 s[22:23], s87, v13
	v_cmp_le_i32_e64 s[26:27], s66, v26
	v_cmp_gt_i32_e64 s[28:29], s65, v26
	s_and_b64 s[78:79], s[74:75], s[18:19]
	s_and_b64 s[74:75], s[16:17], s[20:21]
	s_and_b64 s[70:71], s[24:25], s[14:15]
	v_cmp_le_i32_e64 s[14:15], s60, v21
	v_cmp_gt_i32_e64 s[16:17], s61, v21
	v_cmp_gt_i32_e64 s[20:21], s35, v117
	v_lshlrev_b32_e32 v13, 1, v9
	v_add3_u32 v9, v14, v9, v25
	v_add_u32_e32 v8, v8, v12
	buffer_load_dwordx4 v[4:7], v2, s[36:39], 0 offen
	s_nop 0
	buffer_load_dwordx4 v[0:3], v3, s[36:39], 0 offen
	v_mul_lo_u32 v19, v11, s46
	v_add_u32_e32 v106, v24, v21
	s_and_b64 s[92:93], s[26:27], s[28:29]
	v_cmp_le_i32_e64 s[24:25], s66, v12
	v_cmp_gt_i32_e64 s[26:27], s65, v12
	s_and_b64 s[28:29], s[70:71], s[22:23]
	s_and_b64 s[22:23], s[14:15], s[16:17]
	;; [unrolled: 1-line block ×3, first 2 shown]
	v_lshlrev_b32_e32 v21, 1, v9
	v_add3_u32 v20, v10, v15, v9
	v_cmp_le_i32_e64 s[6:7], s66, v8
	v_cmp_gt_i32_e64 s[14:15], s65, v8
	v_add_u32_e32 v107, v11, v8
	buffer_load_dwordx4 v[12:15], v13, s[56:59], 0 offen
	s_nop 0
	buffer_load_dwordx4 v[8:11], v21, s[56:59], 0 offen
	s_waitcnt lgkmcnt(0)
	s_barrier
	ds_read_b128 v[22:25], v111 offset:16384
	ds_read_b128 v[26:29], v111 offset:16640
	ds_read_b128 v[30:33], v110
	ds_read_b128 v[34:37], v110 offset:256
	ds_read_b128 v[138:141], v111 offset:16896
	ds_read_b128 v[142:145], v111 offset:17152
	ds_read_b128 v[146:149], v110 offset:512
	ds_read_b128 v[150:153], v110 offset:768
	ds_read_b128 v[154:157], v110 offset:1024
	ds_read_b128 v[158:161], v111 offset:17408
	ds_read_b128 v[162:165], v111 offset:17664
	s_waitcnt lgkmcnt(8)
	v_dot2c_f32_f16_e32 v102, v30, v22
	v_dot2c_f32_f16_e32 v103, v30, v23
	;; [unrolled: 1-line block ×32, first 2 shown]
	ds_read_b128 v[30:33], v110 offset:1280
	s_waitcnt lgkmcnt(8)
	v_dot2c_f32_f16_e32 v42, v34, v22
	v_dot2c_f32_f16_e32 v43, v34, v23
	;; [unrolled: 1-line block ×16, first 2 shown]
	ds_read_b128 v[22:25], v110 offset:1536
	v_dot2c_f32_f16_e32 v46, v34, v26
	v_dot2c_f32_f16_e32 v47, v34, v27
	;; [unrolled: 1-line block ×16, first 2 shown]
	ds_read_b128 v[26:29], v111 offset:17920
	ds_read_b128 v[34:37], v111 offset:18176
	s_waitcnt lgkmcnt(8)
	v_dot2c_f32_f16_e32 v102, v146, v138
	v_dot2c_f32_f16_e32 v103, v146, v139
	;; [unrolled: 1-line block ×32, first 2 shown]
	ds_read_b128 v[146:149], v110 offset:1792
	s_waitcnt lgkmcnt(8)
	v_dot2c_f32_f16_e32 v42, v150, v138
	v_dot2c_f32_f16_e32 v43, v150, v139
	;; [unrolled: 1-line block ×16, first 2 shown]
	ds_read_b128 v[138:141], v110 offset:2048
	v_dot2c_f32_f16_e32 v46, v150, v142
	v_dot2c_f32_f16_e32 v47, v150, v143
	;; [unrolled: 1-line block ×16, first 2 shown]
	ds_read_b128 v[142:145], v111 offset:18432
	ds_read_b128 v[150:153], v111 offset:18688
	s_waitcnt lgkmcnt(9)
	v_dot2c_f32_f16_e32 v102, v154, v158
	v_dot2c_f32_f16_e32 v103, v154, v159
	;; [unrolled: 1-line block ×16, first 2 shown]
	s_waitcnt lgkmcnt(8)
	v_dot2c_f32_f16_e32 v98, v154, v162
	v_dot2c_f32_f16_e32 v99, v154, v163
	;; [unrolled: 1-line block ×16, first 2 shown]
	ds_read_b128 v[154:157], v110 offset:2304
	s_waitcnt lgkmcnt(8)
	v_dot2c_f32_f16_e32 v42, v30, v158
	v_dot2c_f32_f16_e32 v43, v30, v159
	;; [unrolled: 1-line block ×16, first 2 shown]
	ds_read_b128 v[158:161], v110 offset:2560
	v_dot2c_f32_f16_e32 v46, v30, v162
	v_dot2c_f32_f16_e32 v47, v30, v163
	;; [unrolled: 1-line block ×16, first 2 shown]
	ds_read_b128 v[30:33], v111 offset:18944
	ds_read_b128 v[162:165], v111 offset:19200
	s_waitcnt lgkmcnt(9)
	v_dot2c_f32_f16_e32 v102, v22, v26
	v_dot2c_f32_f16_e32 v103, v22, v27
	;; [unrolled: 1-line block ×16, first 2 shown]
	s_waitcnt lgkmcnt(8)
	v_dot2c_f32_f16_e32 v98, v22, v34
	v_dot2c_f32_f16_e32 v99, v22, v35
	;; [unrolled: 1-line block ×16, first 2 shown]
	ds_read_b128 v[22:25], v110 offset:2816
	s_waitcnt lgkmcnt(8)
	v_dot2c_f32_f16_e32 v42, v146, v26
	v_dot2c_f32_f16_e32 v43, v146, v27
	;; [unrolled: 1-line block ×16, first 2 shown]
	ds_read_b128 v[26:29], v110 offset:3072
	v_dot2c_f32_f16_e32 v46, v146, v34
	v_dot2c_f32_f16_e32 v47, v146, v35
	;; [unrolled: 1-line block ×16, first 2 shown]
	ds_read_b128 v[34:37], v111 offset:19456
	ds_read_b128 v[146:149], v111 offset:19712
	s_waitcnt lgkmcnt(9)
	v_dot2c_f32_f16_e32 v102, v138, v142
	v_dot2c_f32_f16_e32 v103, v138, v143
	v_dot2c_f32_f16_e32 v100, v138, v144
	v_dot2c_f32_f16_e32 v101, v138, v145
	v_dot2c_f32_f16_e32 v90, v139, v142
	v_dot2c_f32_f16_e32 v91, v139, v143
	v_dot2c_f32_f16_e32 v88, v139, v144
	v_dot2c_f32_f16_e32 v89, v139, v145
	v_dot2c_f32_f16_e32 v86, v140, v142
	v_dot2c_f32_f16_e32 v87, v140, v143
	v_dot2c_f32_f16_e32 v84, v140, v144
	v_dot2c_f32_f16_e32 v85, v140, v145
	v_dot2c_f32_f16_e32 v74, v141, v142
	v_dot2c_f32_f16_e32 v75, v141, v143
	v_dot2c_f32_f16_e32 v72, v141, v144
	v_dot2c_f32_f16_e32 v73, v141, v145
	s_waitcnt lgkmcnt(8)
	v_dot2c_f32_f16_e32 v98, v138, v150
	v_dot2c_f32_f16_e32 v99, v138, v151
	;; [unrolled: 1-line block ×16, first 2 shown]
	ds_read_b128 v[138:141], v110 offset:3328
	s_waitcnt lgkmcnt(8)
	v_dot2c_f32_f16_e32 v42, v154, v142
	v_dot2c_f32_f16_e32 v43, v154, v143
	;; [unrolled: 1-line block ×16, first 2 shown]
	ds_read_b128 v[142:145], v110 offset:3584
	v_dot2c_f32_f16_e32 v46, v154, v150
	v_dot2c_f32_f16_e32 v47, v154, v151
	;; [unrolled: 1-line block ×16, first 2 shown]
	ds_read_b128 v[150:153], v111 offset:19968
	ds_read_b128 v[154:157], v111 offset:20224
	s_waitcnt lgkmcnt(9)
	v_dot2c_f32_f16_e32 v102, v158, v30
	v_dot2c_f32_f16_e32 v103, v158, v31
	;; [unrolled: 1-line block ×16, first 2 shown]
	s_waitcnt lgkmcnt(8)
	v_dot2c_f32_f16_e32 v98, v158, v162
	v_dot2c_f32_f16_e32 v99, v158, v163
	;; [unrolled: 1-line block ×16, first 2 shown]
	ds_read_b128 v[158:161], v110 offset:3840
	s_waitcnt lgkmcnt(8)
	v_dot2c_f32_f16_e32 v42, v22, v30
	v_dot2c_f32_f16_e32 v43, v22, v31
	;; [unrolled: 1-line block ×16, first 2 shown]
	ds_read_b128 v[30:33], v110 offset:4096
	v_dot2c_f32_f16_e32 v46, v22, v162
	v_dot2c_f32_f16_e32 v47, v22, v163
	;; [unrolled: 1-line block ×16, first 2 shown]
	ds_read_b128 v[22:25], v111 offset:20480
	ds_read_b128 v[162:165], v111 offset:20736
	s_waitcnt lgkmcnt(9)
	v_dot2c_f32_f16_e32 v102, v26, v34
	v_dot2c_f32_f16_e32 v103, v26, v35
	;; [unrolled: 1-line block ×16, first 2 shown]
	s_waitcnt lgkmcnt(8)
	v_dot2c_f32_f16_e32 v98, v26, v146
	v_dot2c_f32_f16_e32 v99, v26, v147
	;; [unrolled: 1-line block ×16, first 2 shown]
	ds_read_b128 v[26:29], v110 offset:4352
	s_waitcnt lgkmcnt(8)
	v_dot2c_f32_f16_e32 v42, v138, v34
	v_dot2c_f32_f16_e32 v43, v138, v35
	;; [unrolled: 1-line block ×16, first 2 shown]
	ds_read_b128 v[34:37], v110 offset:4608
	v_dot2c_f32_f16_e32 v46, v138, v146
	v_dot2c_f32_f16_e32 v47, v138, v147
	v_dot2c_f32_f16_e32 v44, v138, v148
	v_dot2c_f32_f16_e32 v45, v138, v149
	v_dot2c_f32_f16_e32 v50, v139, v146
	v_dot2c_f32_f16_e32 v51, v139, v147
	v_dot2c_f32_f16_e32 v48, v139, v148
	v_dot2c_f32_f16_e32 v49, v139, v149
	v_dot2c_f32_f16_e32 v62, v140, v146
	v_dot2c_f32_f16_e32 v63, v140, v147
	v_dot2c_f32_f16_e32 v60, v140, v148
	v_dot2c_f32_f16_e32 v61, v140, v149
	v_dot2c_f32_f16_e32 v68, v141, v146
	v_dot2c_f32_f16_e32 v69, v141, v147
	v_dot2c_f32_f16_e32 v66, v141, v148
	v_dot2c_f32_f16_e32 v67, v141, v149
	ds_read_b128 v[138:141], v111 offset:20992
	ds_read_b128 v[146:149], v111 offset:21248
	s_waitcnt lgkmcnt(9)
	v_dot2c_f32_f16_e32 v102, v142, v150
	v_dot2c_f32_f16_e32 v103, v142, v151
	;; [unrolled: 1-line block ×16, first 2 shown]
	s_waitcnt lgkmcnt(8)
	v_dot2c_f32_f16_e32 v98, v142, v154
	v_dot2c_f32_f16_e32 v99, v142, v155
	;; [unrolled: 1-line block ×16, first 2 shown]
	ds_read_b128 v[142:145], v110 offset:4864
	s_waitcnt lgkmcnt(8)
	v_dot2c_f32_f16_e32 v42, v158, v150
	v_dot2c_f32_f16_e32 v43, v158, v151
	;; [unrolled: 1-line block ×16, first 2 shown]
	ds_read_b128 v[150:153], v110 offset:5120
	v_dot2c_f32_f16_e32 v46, v158, v154
	v_dot2c_f32_f16_e32 v47, v158, v155
	;; [unrolled: 1-line block ×16, first 2 shown]
	ds_read_b128 v[154:157], v111 offset:21504
	ds_read_b128 v[158:161], v111 offset:21760
	s_waitcnt lgkmcnt(9)
	v_dot2c_f32_f16_e32 v102, v30, v22
	v_dot2c_f32_f16_e32 v103, v30, v23
	;; [unrolled: 1-line block ×16, first 2 shown]
	s_waitcnt lgkmcnt(8)
	v_dot2c_f32_f16_e32 v98, v30, v162
	v_dot2c_f32_f16_e32 v99, v30, v163
	;; [unrolled: 1-line block ×16, first 2 shown]
	ds_read_b128 v[30:33], v110 offset:5376
	s_waitcnt lgkmcnt(8)
	v_dot2c_f32_f16_e32 v42, v26, v22
	v_dot2c_f32_f16_e32 v43, v26, v23
	;; [unrolled: 1-line block ×16, first 2 shown]
	ds_read_b128 v[22:25], v110 offset:5632
	v_dot2c_f32_f16_e32 v46, v26, v162
	v_dot2c_f32_f16_e32 v47, v26, v163
	;; [unrolled: 1-line block ×16, first 2 shown]
	ds_read_b128 v[26:29], v111 offset:22016
	ds_read_b128 v[162:165], v111 offset:22272
	s_waitcnt lgkmcnt(9)
	v_dot2c_f32_f16_e32 v102, v34, v138
	v_dot2c_f32_f16_e32 v103, v34, v139
	;; [unrolled: 1-line block ×16, first 2 shown]
	s_waitcnt lgkmcnt(8)
	v_dot2c_f32_f16_e32 v98, v34, v146
	v_dot2c_f32_f16_e32 v99, v34, v147
	v_dot2c_f32_f16_e32 v96, v34, v148
	v_dot2c_f32_f16_e32 v97, v34, v149
	v_dot2c_f32_f16_e32 v94, v35, v146
	v_dot2c_f32_f16_e32 v95, v35, v147
	v_dot2c_f32_f16_e32 v92, v35, v148
	v_dot2c_f32_f16_e32 v93, v35, v149
	v_dot2c_f32_f16_e32 v82, v36, v146
	v_dot2c_f32_f16_e32 v83, v36, v147
	v_dot2c_f32_f16_e32 v80, v36, v148
	v_dot2c_f32_f16_e32 v81, v36, v149
	v_dot2c_f32_f16_e32 v78, v37, v146
	v_dot2c_f32_f16_e32 v79, v37, v147
	v_dot2c_f32_f16_e32 v76, v37, v148
	v_dot2c_f32_f16_e32 v77, v37, v149
	ds_read_b128 v[34:37], v110 offset:5888
	s_waitcnt lgkmcnt(8)
	v_dot2c_f32_f16_e32 v42, v142, v138
	v_dot2c_f32_f16_e32 v43, v142, v139
	;; [unrolled: 1-line block ×16, first 2 shown]
	ds_read_b128 v[138:141], v110 offset:6144
	v_dot2c_f32_f16_e32 v46, v142, v146
	v_dot2c_f32_f16_e32 v47, v142, v147
	;; [unrolled: 1-line block ×16, first 2 shown]
	ds_read_b128 v[142:145], v111 offset:22528
	ds_read_b128 v[146:149], v111 offset:22784
	s_waitcnt lgkmcnt(9)
	v_dot2c_f32_f16_e32 v102, v150, v154
	v_dot2c_f32_f16_e32 v103, v150, v155
	;; [unrolled: 1-line block ×16, first 2 shown]
	s_waitcnt lgkmcnt(8)
	v_dot2c_f32_f16_e32 v98, v150, v158
	v_dot2c_f32_f16_e32 v99, v150, v159
	;; [unrolled: 1-line block ×16, first 2 shown]
	ds_read_b128 v[150:153], v110 offset:6400
	s_waitcnt lgkmcnt(8)
	v_dot2c_f32_f16_e32 v42, v30, v154
	v_dot2c_f32_f16_e32 v43, v30, v155
	;; [unrolled: 1-line block ×16, first 2 shown]
	ds_read_b128 v[154:157], v110 offset:6656
	v_dot2c_f32_f16_e32 v46, v30, v158
	v_dot2c_f32_f16_e32 v47, v30, v159
	v_dot2c_f32_f16_e32 v44, v30, v160
	v_dot2c_f32_f16_e32 v45, v30, v161
	v_dot2c_f32_f16_e32 v50, v31, v158
	v_dot2c_f32_f16_e32 v51, v31, v159
	v_dot2c_f32_f16_e32 v48, v31, v160
	v_dot2c_f32_f16_e32 v49, v31, v161
	v_dot2c_f32_f16_e32 v62, v32, v158
	v_dot2c_f32_f16_e32 v63, v32, v159
	v_dot2c_f32_f16_e32 v60, v32, v160
	v_dot2c_f32_f16_e32 v61, v32, v161
	v_dot2c_f32_f16_e32 v68, v33, v158
	v_dot2c_f32_f16_e32 v69, v33, v159
	v_dot2c_f32_f16_e32 v66, v33, v160
	v_dot2c_f32_f16_e32 v67, v33, v161
	ds_read_b128 v[30:33], v111 offset:23040
	ds_read_b128 v[158:161], v111 offset:23296
	s_waitcnt lgkmcnt(9)
	v_dot2c_f32_f16_e32 v102, v22, v26
	v_dot2c_f32_f16_e32 v103, v22, v27
	;; [unrolled: 1-line block ×16, first 2 shown]
	s_waitcnt lgkmcnt(8)
	v_dot2c_f32_f16_e32 v98, v22, v162
	v_dot2c_f32_f16_e32 v99, v22, v163
	;; [unrolled: 1-line block ×16, first 2 shown]
	ds_read_b128 v[22:25], v110 offset:6912
	s_waitcnt lgkmcnt(8)
	v_dot2c_f32_f16_e32 v42, v34, v26
	v_dot2c_f32_f16_e32 v43, v34, v27
	v_dot2c_f32_f16_e32 v40, v34, v28
	v_dot2c_f32_f16_e32 v41, v34, v29
	v_dot2c_f32_f16_e32 v54, v35, v26
	v_dot2c_f32_f16_e32 v55, v35, v27
	v_dot2c_f32_f16_e32 v52, v35, v28
	v_dot2c_f32_f16_e32 v53, v35, v29
	v_dot2c_f32_f16_e32 v58, v36, v26
	v_dot2c_f32_f16_e32 v59, v36, v27
	v_dot2c_f32_f16_e32 v56, v36, v28
	v_dot2c_f32_f16_e32 v57, v36, v29
	v_dot2c_f32_f16_e32 v64, v37, v26
	v_dot2c_f32_f16_e32 v65, v37, v27
	v_dot2c_f32_f16_e32 v70, v37, v28
	v_dot2c_f32_f16_e32 v71, v37, v29
	v_dot2c_f32_f16_e32 v46, v34, v162
	v_dot2c_f32_f16_e32 v47, v34, v163
	v_dot2c_f32_f16_e32 v44, v34, v164
	v_dot2c_f32_f16_e32 v45, v34, v165
	v_dot2c_f32_f16_e32 v50, v35, v162
	v_dot2c_f32_f16_e32 v51, v35, v163
	v_dot2c_f32_f16_e32 v48, v35, v164
	v_dot2c_f32_f16_e32 v49, v35, v165
	v_add_u32_e32 v17, v129, v128
	v_add_u32_e32 v16, v127, v128
	v_dot2c_f32_f16_e32 v62, v36, v162
	v_dot2c_f32_f16_e32 v63, v36, v163
	;; [unrolled: 1-line block ×8, first 2 shown]
	s_waitcnt lgkmcnt(6)
	v_dot2c_f32_f16_e32 v102, v138, v142
	v_dot2c_f32_f16_e32 v103, v138, v143
	;; [unrolled: 1-line block ×16, first 2 shown]
	s_waitcnt lgkmcnt(4)
	v_dot2c_f32_f16_e32 v42, v150, v142
	v_dot2c_f32_f16_e32 v43, v150, v143
	;; [unrolled: 1-line block ×24, first 2 shown]
	v_add3_u32 v137, v18, v19, v20
	v_lshlrev_b32_e32 v18, 1, v20
	ds_read_b128 v[26:29], v110 offset:7168
	ds_read_b128 v[34:37], v111 offset:23552
	;; [unrolled: 1-line block ×3, first 2 shown]
	v_dot2c_f32_f16_e32 v98, v138, v146
	v_dot2c_f32_f16_e32 v99, v138, v147
	;; [unrolled: 1-line block ×16, first 2 shown]
	ds_read_b128 v[138:141], v110 offset:7424
	ds_read_b128 v[142:145], v110 offset:7680
	v_dot2c_f32_f16_e32 v62, v152, v146
	v_dot2c_f32_f16_e32 v63, v152, v147
	v_dot2c_f32_f16_e32 v60, v152, v148
	v_dot2c_f32_f16_e32 v61, v152, v149
	v_dot2c_f32_f16_e32 v68, v153, v146
	v_dot2c_f32_f16_e32 v69, v153, v147
	v_dot2c_f32_f16_e32 v66, v153, v148
	v_dot2c_f32_f16_e32 v67, v153, v149
	ds_read_b128 v[146:149], v111 offset:24064
	ds_read_b128 v[150:153], v111 offset:24320
	s_waitcnt lgkmcnt(9)
	v_dot2c_f32_f16_e32 v102, v154, v30
	v_dot2c_f32_f16_e32 v103, v154, v31
	;; [unrolled: 1-line block ×16, first 2 shown]
	buffer_load_dwordx4 v[166:169], v17, s[36:39], 0 offen
	s_waitcnt lgkmcnt(7)
	v_dot2c_f32_f16_e32 v42, v22, v30
	v_dot2c_f32_f16_e32 v43, v22, v31
	;; [unrolled: 1-line block ×16, first 2 shown]
	buffer_load_dwordx4 v[30:33], v16, s[36:39], 0 offen
	v_dot2c_f32_f16_e32 v46, v22, v158
	v_dot2c_f32_f16_e32 v47, v22, v159
	;; [unrolled: 1-line block ×8, first 2 shown]
	buffer_load_dwordx4 v[20:23], v18, s[56:59], 0 offen
	v_lshlrev_b32_e32 v16, 1, v137
	buffer_load_dwordx4 v[16:19], v16, s[56:59], 0 offen
	v_cmp_le_i32_e64 s[18:19], s87, v117
	s_and_b64 s[80:81], s[80:81], s[92:93]
	s_and_b64 s[26:27], s[24:25], s[26:27]
	v_dot2c_f32_f16_e32 v98, v154, v158
	v_dot2c_f32_f16_e32 v99, v154, v159
	;; [unrolled: 1-line block ×16, first 2 shown]
	ds_read_b128 v[154:157], v110 offset:7936
	v_cmp_gt_i32_e64 s[10:11], s83, v120
	v_cmp_gt_i32_e64 s[12:13], s83, v119
	v_cmp_le_i32_e64 s[16:17], s60, v106
	v_cmp_gt_i32_e64 s[20:21], s61, v106
	s_and_b64 s[24:25], s[70:71], s[18:19]
	s_and_b64 s[18:19], s[76:77], s[80:81]
	s_and_b64 s[26:27], s[78:79], s[26:27]
	s_and_b64 s[70:71], s[6:7], s[14:15]
	s_and_b64 s[20:21], s[16:17], s[20:21]
	s_and_b64 s[16:17], s[2:3], s[10:11]
	s_and_b64 s[10:11], s[2:3], s[12:13]
	v_cmp_le_i32_e64 s[6:7], s66, v107
	v_cmp_gt_i32_e64 s[12:13], s65, v107
	s_and_b64 s[14:15], vcc, s[18:19]
	s_and_b64 s[18:19], s[74:75], s[26:27]
	s_and_b64 s[26:27], s[28:29], s[70:71]
	v_dot2c_f32_f16_e32 v62, v24, v158
	v_dot2c_f32_f16_e32 v63, v24, v159
	;; [unrolled: 1-line block ×8, first 2 shown]
	s_and_b64 s[6:7], s[6:7], s[12:13]
	s_and_b64 s[18:19], vcc, s[18:19]
	s_and_b64 s[12:13], s[22:23], s[26:27]
	s_waitcnt vmcnt(7)
	v_cndmask_b32_e64 v7, 0, v7, s[8:9]
	v_cndmask_b32_e64 v6, 0, v6, s[8:9]
	;; [unrolled: 1-line block ×4, first 2 shown]
	s_waitcnt vmcnt(6)
	v_cndmask_b32_e64 v3, 0, v3, s[4:5]
	v_cndmask_b32_e64 v2, 0, v2, s[4:5]
	;; [unrolled: 1-line block ×4, first 2 shown]
	s_and_b64 s[12:13], vcc, s[12:13]
	s_waitcnt lgkmcnt(6)
	v_dot2c_f32_f16_e32 v102, v26, v34
	v_dot2c_f32_f16_e32 v103, v26, v35
	v_dot2c_f32_f16_e32 v100, v26, v36
	v_dot2c_f32_f16_e32 v101, v26, v37
	v_dot2c_f32_f16_e32 v90, v27, v34
	v_dot2c_f32_f16_e32 v91, v27, v35
	v_dot2c_f32_f16_e32 v88, v27, v36
	v_dot2c_f32_f16_e32 v89, v27, v37
	v_dot2c_f32_f16_e32 v86, v28, v34
	v_dot2c_f32_f16_e32 v87, v28, v35
	v_dot2c_f32_f16_e32 v84, v28, v36
	v_dot2c_f32_f16_e32 v85, v28, v37
	v_dot2c_f32_f16_e32 v74, v29, v34
	v_dot2c_f32_f16_e32 v75, v29, v35
	v_dot2c_f32_f16_e32 v72, v29, v36
	v_dot2c_f32_f16_e32 v73, v29, v37
	s_waitcnt lgkmcnt(5)
	v_dot2c_f32_f16_e32 v98, v26, v162
	v_dot2c_f32_f16_e32 v99, v26, v163
	v_dot2c_f32_f16_e32 v96, v26, v164
	v_dot2c_f32_f16_e32 v97, v26, v165
	v_dot2c_f32_f16_e32 v94, v27, v162
	v_dot2c_f32_f16_e32 v95, v27, v163
	v_dot2c_f32_f16_e32 v92, v27, v164
	v_dot2c_f32_f16_e32 v93, v27, v165
	v_dot2c_f32_f16_e32 v82, v28, v162
	v_dot2c_f32_f16_e32 v83, v28, v163
	v_dot2c_f32_f16_e32 v80, v28, v164
	v_dot2c_f32_f16_e32 v81, v28, v165
	v_dot2c_f32_f16_e32 v78, v29, v162
	v_dot2c_f32_f16_e32 v79, v29, v163
	v_dot2c_f32_f16_e32 v76, v29, v164
	v_dot2c_f32_f16_e32 v77, v29, v165
	;; [unrolled: 17-line block ×3, first 2 shown]
	v_dot2c_f32_f16_e32 v46, v138, v162
	v_dot2c_f32_f16_e32 v47, v138, v163
	;; [unrolled: 1-line block ×16, first 2 shown]
	ds_write2st64_b32 v112, v4, v5 offset0:96 offset1:98
	ds_write2st64_b32 v112, v6, v7 offset0:100 offset1:102
	;; [unrolled: 1-line block ×4, first 2 shown]
	s_waitcnt vmcnt(5)
	v_cndmask_b32_e64 v0, 0, v15, s[14:15]
	v_cndmask_b32_e64 v1, 0, v14, s[14:15]
	;; [unrolled: 1-line block ×4, first 2 shown]
	s_waitcnt vmcnt(4)
	v_cndmask_b32_e64 v4, 0, v11, s[18:19]
	v_cndmask_b32_e64 v5, 0, v10, s[18:19]
	;; [unrolled: 1-line block ×4, first 2 shown]
	s_waitcnt lgkmcnt(6)
	v_dot2c_f32_f16_e32 v102, v142, v146
	v_dot2c_f32_f16_e32 v103, v142, v147
	v_dot2c_f32_f16_e32 v100, v142, v148
	v_dot2c_f32_f16_e32 v101, v142, v149
	v_dot2c_f32_f16_e32 v90, v143, v146
	v_dot2c_f32_f16_e32 v91, v143, v147
	v_dot2c_f32_f16_e32 v88, v143, v148
	v_dot2c_f32_f16_e32 v89, v143, v149
	v_dot2c_f32_f16_e32 v86, v144, v146
	v_dot2c_f32_f16_e32 v87, v144, v147
	v_dot2c_f32_f16_e32 v84, v144, v148
	v_dot2c_f32_f16_e32 v85, v144, v149
	v_dot2c_f32_f16_e32 v74, v145, v146
	v_dot2c_f32_f16_e32 v75, v145, v147
	v_dot2c_f32_f16_e32 v72, v145, v148
	v_dot2c_f32_f16_e32 v73, v145, v149
	s_waitcnt lgkmcnt(5)
	v_dot2c_f32_f16_e32 v98, v142, v150
	v_dot2c_f32_f16_e32 v99, v142, v151
	v_dot2c_f32_f16_e32 v96, v142, v152
	v_dot2c_f32_f16_e32 v97, v142, v153
	v_dot2c_f32_f16_e32 v94, v143, v150
	v_dot2c_f32_f16_e32 v95, v143, v151
	v_dot2c_f32_f16_e32 v92, v143, v152
	v_dot2c_f32_f16_e32 v93, v143, v153
	v_dot2c_f32_f16_e32 v82, v144, v150
	v_dot2c_f32_f16_e32 v83, v144, v151
	v_dot2c_f32_f16_e32 v80, v144, v152
	v_dot2c_f32_f16_e32 v81, v144, v153
	v_dot2c_f32_f16_e32 v78, v145, v150
	v_dot2c_f32_f16_e32 v79, v145, v151
	v_dot2c_f32_f16_e32 v76, v145, v152
	v_dot2c_f32_f16_e32 v77, v145, v153
	;; [unrolled: 17-line block ×3, first 2 shown]
	v_dot2c_f32_f16_e32 v46, v154, v150
	v_dot2c_f32_f16_e32 v47, v154, v151
	;; [unrolled: 1-line block ×16, first 2 shown]
	ds_write2st64_b32 v112, v3, v2 offset0:32 offset1:34
	ds_write2st64_b32 v112, v1, v0 offset0:36 offset1:38
	s_waitcnt vmcnt(2)
	v_cndmask_b32_e64 v138, 0, v33, s[10:11]
	v_cndmask_b32_e64 v139, 0, v32, s[10:11]
	;; [unrolled: 1-line block ×4, first 2 shown]
	ds_write2st64_b32 v112, v7, v6 offset0:40 offset1:42
	ds_write2st64_b32 v112, v5, v4 offset0:44 offset1:46
	s_waitcnt lgkmcnt(0)
	s_barrier
	ds_read_b128 v[0:3], v111 offset:24576
	ds_read_b128 v[4:7], v111 offset:24832
	;; [unrolled: 1-line block ×10, first 2 shown]
	s_waitcnt vmcnt(1)
	v_cndmask_b32_e64 v146, 0, v23, s[12:13]
	v_cndmask_b32_e64 v147, 0, v22, s[12:13]
	;; [unrolled: 1-line block ×4, first 2 shown]
	ds_read_b128 v[20:23], v110 offset:9216
	ds_read_b128 v[158:161], v110 offset:9472
	s_waitcnt lgkmcnt(9)
	v_dot2c_f32_f16_e32 v102, v8, v0
	v_dot2c_f32_f16_e32 v103, v8, v1
	;; [unrolled: 1-line block ×32, first 2 shown]
	ds_read_b128 v[8:11], v111 offset:26112
	s_waitcnt lgkmcnt(9)
	v_dot2c_f32_f16_e32 v42, v12, v0
	v_dot2c_f32_f16_e32 v43, v12, v1
	;; [unrolled: 1-line block ×16, first 2 shown]
	ds_read_b128 v[0:3], v111 offset:26368
	v_dot2c_f32_f16_e32 v46, v12, v4
	v_dot2c_f32_f16_e32 v47, v12, v5
	;; [unrolled: 1-line block ×16, first 2 shown]
	ds_read_b128 v[4:7], v110 offset:9728
	ds_read_b128 v[12:15], v110 offset:9984
	s_waitcnt lgkmcnt(9)
	v_dot2c_f32_f16_e32 v102, v32, v24
	v_dot2c_f32_f16_e32 v103, v32, v25
	;; [unrolled: 1-line block ×32, first 2 shown]
	ds_read_b128 v[32:35], v111 offset:26624
	s_waitcnt lgkmcnt(9)
	v_dot2c_f32_f16_e32 v42, v36, v24
	v_dot2c_f32_f16_e32 v43, v36, v25
	;; [unrolled: 1-line block ×16, first 2 shown]
	ds_read_b128 v[24:27], v111 offset:26880
	v_dot2c_f32_f16_e32 v46, v36, v28
	v_dot2c_f32_f16_e32 v47, v36, v29
	;; [unrolled: 1-line block ×16, first 2 shown]
	ds_read_b128 v[28:31], v110 offset:10240
	ds_read_b128 v[36:39], v110 offset:10496
	s_waitcnt lgkmcnt(9)
	v_dot2c_f32_f16_e32 v102, v20, v150
	v_dot2c_f32_f16_e32 v103, v20, v151
	;; [unrolled: 1-line block ×32, first 2 shown]
	ds_read_b128 v[20:23], v111 offset:27136
	s_waitcnt lgkmcnt(9)
	v_dot2c_f32_f16_e32 v42, v158, v150
	v_dot2c_f32_f16_e32 v43, v158, v151
	;; [unrolled: 1-line block ×16, first 2 shown]
	ds_read_b128 v[150:153], v111 offset:27392
	v_dot2c_f32_f16_e32 v46, v158, v154
	v_dot2c_f32_f16_e32 v47, v158, v155
	v_dot2c_f32_f16_e32 v44, v158, v156
	v_dot2c_f32_f16_e32 v45, v158, v157
	v_dot2c_f32_f16_e32 v50, v159, v154
	v_dot2c_f32_f16_e32 v51, v159, v155
	v_dot2c_f32_f16_e32 v48, v159, v156
	v_dot2c_f32_f16_e32 v49, v159, v157
	v_dot2c_f32_f16_e32 v62, v160, v154
	v_dot2c_f32_f16_e32 v63, v160, v155
	v_dot2c_f32_f16_e32 v60, v160, v156
	v_dot2c_f32_f16_e32 v61, v160, v157
	v_dot2c_f32_f16_e32 v68, v161, v154
	v_dot2c_f32_f16_e32 v69, v161, v155
	v_dot2c_f32_f16_e32 v66, v161, v156
	v_dot2c_f32_f16_e32 v67, v161, v157
	ds_read_b128 v[154:157], v110 offset:10752
	ds_read_b128 v[158:161], v110 offset:11008
	s_waitcnt lgkmcnt(9)
	v_dot2c_f32_f16_e32 v102, v4, v8
	v_dot2c_f32_f16_e32 v103, v4, v9
	;; [unrolled: 1-line block ×32, first 2 shown]
	ds_read_b128 v[4:7], v111 offset:27648
	s_waitcnt lgkmcnt(9)
	v_dot2c_f32_f16_e32 v42, v12, v8
	v_dot2c_f32_f16_e32 v43, v12, v9
	;; [unrolled: 1-line block ×16, first 2 shown]
	ds_read_b128 v[8:11], v111 offset:27904
	v_dot2c_f32_f16_e32 v46, v12, v0
	v_dot2c_f32_f16_e32 v47, v12, v1
	;; [unrolled: 1-line block ×16, first 2 shown]
	ds_read_b128 v[0:3], v110 offset:11264
	ds_read_b128 v[12:15], v110 offset:11520
	s_waitcnt lgkmcnt(9)
	v_dot2c_f32_f16_e32 v102, v28, v32
	v_dot2c_f32_f16_e32 v103, v28, v33
	;; [unrolled: 1-line block ×32, first 2 shown]
	ds_read_b128 v[28:31], v111 offset:28160
	s_waitcnt lgkmcnt(9)
	v_dot2c_f32_f16_e32 v42, v36, v32
	v_dot2c_f32_f16_e32 v43, v36, v33
	;; [unrolled: 1-line block ×16, first 2 shown]
	ds_read_b128 v[32:35], v111 offset:28416
	v_dot2c_f32_f16_e32 v46, v36, v24
	v_dot2c_f32_f16_e32 v47, v36, v25
	v_dot2c_f32_f16_e32 v44, v36, v26
	v_dot2c_f32_f16_e32 v45, v36, v27
	v_dot2c_f32_f16_e32 v50, v37, v24
	v_dot2c_f32_f16_e32 v51, v37, v25
	v_dot2c_f32_f16_e32 v48, v37, v26
	v_dot2c_f32_f16_e32 v49, v37, v27
	v_dot2c_f32_f16_e32 v62, v38, v24
	v_dot2c_f32_f16_e32 v63, v38, v25
	v_dot2c_f32_f16_e32 v60, v38, v26
	v_dot2c_f32_f16_e32 v61, v38, v27
	v_dot2c_f32_f16_e32 v68, v39, v24
	v_dot2c_f32_f16_e32 v69, v39, v25
	v_dot2c_f32_f16_e32 v66, v39, v26
	v_dot2c_f32_f16_e32 v67, v39, v27
	ds_read_b128 v[24:27], v110 offset:11776
	ds_read_b128 v[36:39], v110 offset:12032
	s_waitcnt lgkmcnt(9)
	v_dot2c_f32_f16_e32 v102, v154, v20
	v_dot2c_f32_f16_e32 v103, v154, v21
	;; [unrolled: 1-line block ×32, first 2 shown]
	ds_read_b128 v[154:157], v111 offset:28672
	s_waitcnt lgkmcnt(9)
	v_dot2c_f32_f16_e32 v42, v158, v20
	v_dot2c_f32_f16_e32 v43, v158, v21
	;; [unrolled: 1-line block ×16, first 2 shown]
	ds_read_b128 v[20:23], v111 offset:28928
	v_dot2c_f32_f16_e32 v46, v158, v150
	v_dot2c_f32_f16_e32 v47, v158, v151
	;; [unrolled: 1-line block ×16, first 2 shown]
	ds_read_b128 v[150:153], v110 offset:12288
	ds_read_b128 v[158:161], v110 offset:12544
	s_waitcnt lgkmcnt(9)
	v_dot2c_f32_f16_e32 v102, v0, v4
	v_dot2c_f32_f16_e32 v103, v0, v5
	;; [unrolled: 1-line block ×32, first 2 shown]
	ds_read_b128 v[0:3], v111 offset:29184
	s_waitcnt lgkmcnt(9)
	v_dot2c_f32_f16_e32 v42, v12, v4
	v_dot2c_f32_f16_e32 v43, v12, v5
	v_dot2c_f32_f16_e32 v40, v12, v6
	v_dot2c_f32_f16_e32 v41, v12, v7
	v_dot2c_f32_f16_e32 v54, v13, v4
	v_dot2c_f32_f16_e32 v55, v13, v5
	v_dot2c_f32_f16_e32 v52, v13, v6
	v_dot2c_f32_f16_e32 v53, v13, v7
	v_dot2c_f32_f16_e32 v58, v14, v4
	v_dot2c_f32_f16_e32 v59, v14, v5
	v_dot2c_f32_f16_e32 v56, v14, v6
	v_dot2c_f32_f16_e32 v57, v14, v7
	v_dot2c_f32_f16_e32 v64, v15, v4
	v_dot2c_f32_f16_e32 v65, v15, v5
	v_dot2c_f32_f16_e32 v70, v15, v6
	v_dot2c_f32_f16_e32 v71, v15, v7
	ds_read_b128 v[4:7], v111 offset:29440
	v_dot2c_f32_f16_e32 v46, v12, v8
	v_dot2c_f32_f16_e32 v47, v12, v9
	;; [unrolled: 1-line block ×16, first 2 shown]
	ds_read_b128 v[8:11], v110 offset:12800
	ds_read_b128 v[12:15], v110 offset:13056
	v_cndmask_b32_e64 v140, 0, v169, s[16:17]
	v_cndmask_b32_e64 v141, 0, v168, s[16:17]
	;; [unrolled: 1-line block ×4, first 2 shown]
	s_waitcnt lgkmcnt(9)
	v_dot2c_f32_f16_e32 v102, v24, v28
	v_dot2c_f32_f16_e32 v103, v24, v29
	;; [unrolled: 1-line block ×32, first 2 shown]
	ds_read_b128 v[24:27], v111 offset:29696
	ds_read_b128 v[162:165], v111 offset:29952
	s_waitcnt lgkmcnt(10)
	v_dot2c_f32_f16_e32 v42, v36, v28
	v_dot2c_f32_f16_e32 v43, v36, v29
	;; [unrolled: 1-line block ×32, first 2 shown]
	ds_read_b128 v[28:31], v110 offset:13312
	ds_read_b128 v[166:169], v110 offset:13568
	s_waitcnt lgkmcnt(9)
	v_dot2c_f32_f16_e32 v102, v150, v154
	v_dot2c_f32_f16_e32 v103, v150, v155
	;; [unrolled: 1-line block ×32, first 2 shown]
	ds_read_b128 v[150:153], v111 offset:30208
	s_waitcnt lgkmcnt(9)
	v_dot2c_f32_f16_e32 v42, v158, v154
	v_dot2c_f32_f16_e32 v43, v158, v155
	;; [unrolled: 1-line block ×16, first 2 shown]
	ds_read_b128 v[154:157], v111 offset:30464
	v_dot2c_f32_f16_e32 v46, v158, v20
	v_dot2c_f32_f16_e32 v47, v158, v21
	;; [unrolled: 1-line block ×16, first 2 shown]
	ds_read_b128 v[158:161], v110 offset:13824
	ds_read_b128 v[170:173], v110 offset:14080
	s_and_b64 s[6:7], s[24:25], s[6:7]
	s_waitcnt lgkmcnt(9)
	v_dot2c_f32_f16_e32 v102, v8, v0
	v_dot2c_f32_f16_e32 v103, v8, v1
	;; [unrolled: 1-line block ×16, first 2 shown]
	s_waitcnt lgkmcnt(8)
	v_dot2c_f32_f16_e32 v42, v12, v0
	v_dot2c_f32_f16_e32 v43, v12, v1
	;; [unrolled: 1-line block ×16, first 2 shown]
	s_and_b64 s[6:7], s[20:21], s[6:7]
	v_dot2c_f32_f16_e32 v98, v8, v4
	v_dot2c_f32_f16_e32 v99, v8, v5
	v_dot2c_f32_f16_e32 v96, v8, v6
	v_dot2c_f32_f16_e32 v97, v8, v7
	v_dot2c_f32_f16_e32 v94, v9, v4
	v_dot2c_f32_f16_e32 v95, v9, v5
	v_dot2c_f32_f16_e32 v92, v9, v6
	v_dot2c_f32_f16_e32 v93, v9, v7
	v_dot2c_f32_f16_e32 v82, v10, v4
	v_dot2c_f32_f16_e32 v83, v10, v5
	v_dot2c_f32_f16_e32 v80, v10, v6
	v_dot2c_f32_f16_e32 v81, v10, v7
	v_dot2c_f32_f16_e32 v78, v11, v4
	v_dot2c_f32_f16_e32 v79, v11, v5
	v_dot2c_f32_f16_e32 v76, v11, v6
	v_dot2c_f32_f16_e32 v77, v11, v7
	v_dot2c_f32_f16_e32 v46, v12, v4
	v_dot2c_f32_f16_e32 v47, v12, v5
	v_dot2c_f32_f16_e32 v44, v12, v6
	v_dot2c_f32_f16_e32 v45, v12, v7
	v_dot2c_f32_f16_e32 v50, v13, v4
	v_dot2c_f32_f16_e32 v51, v13, v5
	v_dot2c_f32_f16_e32 v48, v13, v6
	v_dot2c_f32_f16_e32 v49, v13, v7
	v_dot2c_f32_f16_e32 v62, v14, v4
	v_dot2c_f32_f16_e32 v63, v14, v5
	v_dot2c_f32_f16_e32 v60, v14, v6
	v_dot2c_f32_f16_e32 v61, v14, v7
	v_dot2c_f32_f16_e32 v68, v15, v4
	v_dot2c_f32_f16_e32 v69, v15, v5
	v_dot2c_f32_f16_e32 v66, v15, v6
	v_dot2c_f32_f16_e32 v67, v15, v7
	s_waitcnt lgkmcnt(5)
	v_dot2c_f32_f16_e32 v102, v28, v24
	v_dot2c_f32_f16_e32 v103, v28, v25
	;; [unrolled: 1-line block ×16, first 2 shown]
	s_waitcnt lgkmcnt(4)
	v_dot2c_f32_f16_e32 v42, v166, v24
	v_dot2c_f32_f16_e32 v43, v166, v25
	;; [unrolled: 1-line block ×16, first 2 shown]
	s_and_b64 s[6:7], vcc, s[6:7]
	ds_read_b128 v[174:177], v111 offset:30720
	ds_read_b128 v[178:181], v111 offset:30976
	;; [unrolled: 1-line block ×4, first 2 shown]
	v_dot2c_f32_f16_e32 v98, v28, v162
	v_dot2c_f32_f16_e32 v99, v28, v163
	v_dot2c_f32_f16_e32 v96, v28, v164
	v_dot2c_f32_f16_e32 v97, v28, v165
	v_dot2c_f32_f16_e32 v94, v29, v162
	v_dot2c_f32_f16_e32 v95, v29, v163
	v_dot2c_f32_f16_e32 v92, v29, v164
	v_dot2c_f32_f16_e32 v93, v29, v165
	v_dot2c_f32_f16_e32 v82, v30, v162
	v_dot2c_f32_f16_e32 v83, v30, v163
	v_dot2c_f32_f16_e32 v80, v30, v164
	v_dot2c_f32_f16_e32 v81, v30, v165
	v_dot2c_f32_f16_e32 v78, v31, v162
	v_dot2c_f32_f16_e32 v79, v31, v163
	v_dot2c_f32_f16_e32 v76, v31, v164
	v_dot2c_f32_f16_e32 v77, v31, v165
	ds_read_b128 v[28:31], v111 offset:31744
	ds_read_b128 v[20:23], v111 offset:32000
	v_dot2c_f32_f16_e32 v46, v166, v162
	v_dot2c_f32_f16_e32 v47, v166, v163
	;; [unrolled: 1-line block ×16, first 2 shown]
	ds_read_b128 v[162:165], v110 offset:15360
	ds_read_b128 v[24:27], v110 offset:15616
	s_waitcnt lgkmcnt(9)
	v_dot2c_f32_f16_e32 v102, v158, v150
	v_dot2c_f32_f16_e32 v103, v158, v151
	v_dot2c_f32_f16_e32 v100, v158, v152
	v_dot2c_f32_f16_e32 v101, v158, v153
	v_dot2c_f32_f16_e32 v90, v159, v150
	v_dot2c_f32_f16_e32 v91, v159, v151
	v_dot2c_f32_f16_e32 v88, v159, v152
	v_dot2c_f32_f16_e32 v89, v159, v153
	v_dot2c_f32_f16_e32 v86, v160, v150
	v_dot2c_f32_f16_e32 v87, v160, v151
	v_dot2c_f32_f16_e32 v84, v160, v152
	v_dot2c_f32_f16_e32 v85, v160, v153
	v_dot2c_f32_f16_e32 v74, v161, v150
	v_dot2c_f32_f16_e32 v75, v161, v151
	v_dot2c_f32_f16_e32 v72, v161, v152
	v_dot2c_f32_f16_e32 v73, v161, v153
	ds_read_b128 v[0:3], v111 offset:32256
	ds_read_b128 v[4:7], v111 offset:32512
	s_waitcnt lgkmcnt(10)
	v_dot2c_f32_f16_e32 v42, v170, v150
	v_dot2c_f32_f16_e32 v43, v170, v151
	;; [unrolled: 1-line block ×16, first 2 shown]
	ds_read_b128 v[12:15], v110 offset:15872
	ds_read_b128 v[8:11], v110 offset:16128
	ds_write2st64_b32 v112, v143, v142 offset0:64 offset1:66
	ds_read_b128 v[150:153], v110 offset:14336
	ds_write2st64_b32 v112, v141, v140 offset0:68 offset1:70
	ds_write2st64_b32 v112, v145, v144 offset0:72 offset1:74
	v_dot2c_f32_f16_e32 v98, v158, v154
	v_dot2c_f32_f16_e32 v99, v158, v155
	;; [unrolled: 1-line block ×16, first 2 shown]
	s_waitcnt vmcnt(0)
	v_cndmask_b32_e64 v154, 0, v19, s[6:7]
	v_cndmask_b32_e64 v155, 0, v18, s[6:7]
	;; [unrolled: 1-line block ×4, first 2 shown]
	ds_read_b128 v[16:19], v110 offset:14592
	ds_write2st64_b32 v112, v139, v138 offset0:76 offset1:78
	ds_write2st64_b32 v112, v149, v148 offset1:2
	ds_read_b128 v[138:141], v110 offset:14848
	ds_write2st64_b32 v112, v147, v146 offset0:4 offset1:6
	ds_write2st64_b32 v112, v143, v142 offset0:8 offset1:10
	ds_read_b128 v[142:145], v110 offset:15104
	v_dot2c_f32_f16_e32 v96, v158, v156
	v_dot2c_f32_f16_e32 v97, v158, v157
	v_dot2c_f32_f16_e32 v92, v159, v156
	v_dot2c_f32_f16_e32 v93, v159, v157
	v_dot2c_f32_f16_e32 v80, v160, v156
	v_dot2c_f32_f16_e32 v81, v160, v157
	v_dot2c_f32_f16_e32 v76, v161, v156
	v_dot2c_f32_f16_e32 v77, v161, v157
	v_dot2c_f32_f16_e32 v44, v170, v156
	v_dot2c_f32_f16_e32 v45, v170, v157
	v_dot2c_f32_f16_e32 v48, v171, v156
	v_dot2c_f32_f16_e32 v49, v171, v157
	v_dot2c_f32_f16_e32 v60, v172, v156
	v_dot2c_f32_f16_e32 v61, v172, v157
	v_dot2c_f32_f16_e32 v66, v173, v156
	v_dot2c_f32_f16_e32 v67, v173, v157
	s_waitcnt lgkmcnt(9)
	v_dot2c_f32_f16_e32 v102, v150, v174
	v_dot2c_f32_f16_e32 v103, v150, v175
	v_dot2c_f32_f16_e32 v100, v150, v176
	v_dot2c_f32_f16_e32 v101, v150, v177
	v_dot2c_f32_f16_e32 v90, v151, v174
	v_dot2c_f32_f16_e32 v91, v151, v175
	v_dot2c_f32_f16_e32 v88, v151, v176
	v_dot2c_f32_f16_e32 v89, v151, v177
	v_dot2c_f32_f16_e32 v86, v152, v174
	v_dot2c_f32_f16_e32 v87, v152, v175
	v_dot2c_f32_f16_e32 v84, v152, v176
	v_dot2c_f32_f16_e32 v85, v152, v177
	v_dot2c_f32_f16_e32 v74, v153, v174
	v_dot2c_f32_f16_e32 v75, v153, v175
	v_dot2c_f32_f16_e32 v72, v153, v176
	v_dot2c_f32_f16_e32 v73, v153, v177
	v_dot2c_f32_f16_e32 v98, v150, v178
	v_dot2c_f32_f16_e32 v99, v150, v179
	v_dot2c_f32_f16_e32 v96, v150, v180
	v_dot2c_f32_f16_e32 v97, v150, v181
	v_dot2c_f32_f16_e32 v94, v151, v178
	v_dot2c_f32_f16_e32 v95, v151, v179
	v_dot2c_f32_f16_e32 v92, v151, v180
	v_dot2c_f32_f16_e32 v93, v151, v181
	v_dot2c_f32_f16_e32 v82, v152, v178
	v_dot2c_f32_f16_e32 v83, v152, v179
	v_dot2c_f32_f16_e32 v80, v152, v180
	v_dot2c_f32_f16_e32 v81, v152, v181
	v_dot2c_f32_f16_e32 v78, v153, v178
	v_dot2c_f32_f16_e32 v79, v153, v179
	v_dot2c_f32_f16_e32 v76, v153, v180
	v_dot2c_f32_f16_e32 v77, v153, v181
	s_waitcnt lgkmcnt(6)
	v_dot2c_f32_f16_e32 v42, v16, v174
	v_dot2c_f32_f16_e32 v43, v16, v175
	v_dot2c_f32_f16_e32 v40, v16, v176
	v_dot2c_f32_f16_e32 v41, v16, v177
	v_dot2c_f32_f16_e32 v54, v17, v174
	v_dot2c_f32_f16_e32 v55, v17, v175
	v_dot2c_f32_f16_e32 v52, v17, v176
	v_dot2c_f32_f16_e32 v53, v17, v177
	v_dot2c_f32_f16_e32 v58, v18, v174
	v_dot2c_f32_f16_e32 v59, v18, v175
	v_dot2c_f32_f16_e32 v56, v18, v176
	v_dot2c_f32_f16_e32 v57, v18, v177
	v_dot2c_f32_f16_e32 v64, v19, v174
	v_dot2c_f32_f16_e32 v65, v19, v175
	v_dot2c_f32_f16_e32 v70, v19, v176
	v_dot2c_f32_f16_e32 v71, v19, v177
	;; [unrolled: 33-line block ×4, first 2 shown]
	v_dot2c_f32_f16_e32 v46, v142, v32
	v_dot2c_f32_f16_e32 v47, v142, v33
	v_dot2c_f32_f16_e32 v44, v142, v34
	v_dot2c_f32_f16_e32 v45, v142, v35
	v_dot2c_f32_f16_e32 v50, v143, v32
	v_dot2c_f32_f16_e32 v51, v143, v33
	v_dot2c_f32_f16_e32 v48, v143, v34
	v_dot2c_f32_f16_e32 v49, v143, v35
	v_dot2c_f32_f16_e32 v62, v144, v32
	v_dot2c_f32_f16_e32 v63, v144, v33
	v_dot2c_f32_f16_e32 v60, v144, v34
	v_dot2c_f32_f16_e32 v61, v144, v35
	v_dot2c_f32_f16_e32 v68, v145, v32
	v_dot2c_f32_f16_e32 v69, v145, v33
	v_dot2c_f32_f16_e32 v66, v145, v34
	v_dot2c_f32_f16_e32 v67, v145, v35
	s_add_i32 s82, s82, 32
	s_add_i32 s97, s97, s51
	v_dot2c_f32_f16_e32 v102, v162, v28
	v_dot2c_f32_f16_e32 v103, v162, v29
	;; [unrolled: 1-line block ×64, first 2 shown]
	v_add_u32_e32 v119, s64, v119
	v_add_u32_e32 v120, s64, v120
	;; [unrolled: 1-line block ×9, first 2 shown]
	v_subrev_u32_e32 v132, s51, v132
	s_cmp_lt_i32 s82, s34
	v_dot2c_f32_f16_e32 v102, v12, v0
	v_dot2c_f32_f16_e32 v103, v12, v1
	;; [unrolled: 1-line block ×64, first 2 shown]
	ds_write2st64_b32 v112, v155, v154 offset0:12 offset1:14
	s_cbranch_scc1 .LBB9_1
; %bb.2:
	s_mul_i32 s4, s42, s90
	s_mul_hi_u32 s5, s42, s89
	s_add_i32 s4, s5, s4
	s_mul_i32 s5, s43, s89
	s_add_i32 s5, s4, s5
	s_mul_i32 s4, s42, s89
	s_lshl_b64 s[4:5], s[4:5], 1
	v_readlane_b32 s8, v182, 0
	s_load_dwordx2 s[0:1], s[0:1], 0x10
	v_readlane_b32 s9, v182, 1
	s_add_u32 s8, s8, s4
	s_addc_u32 s9, s9, s5
	s_mul_i32 s4, s40, s90
	s_mul_hi_u32 s5, s40, s89
	s_add_i32 s4, s5, s4
	s_mul_i32 s5, s41, s89
	s_add_i32 s5, s4, s5
	s_mul_i32 s4, s40, s89
	s_lshl_b64 s[4:5], s[4:5], 1
	s_mul_i32 s6, s88, 12
	s_waitcnt lgkmcnt(0)
	s_add_u32 s12, s0, s4
	s_addc_u32 s10, s1, s5
	s_add_i32 s6, s6, s97
	v_add_u32_e32 v20, s6, v114
	v_mul_hi_u32 v0, v20, s86
	v_add_u32_e32 v0, v20, v0
	v_lshrrev_b32_e32 v1, s54, v0
	v_mul_hi_u32 v2, s96, v1
	v_add_u32_e32 v2, v1, v2
	v_lshrrev_b32_e32 v4, s53, v2
	v_mul_lo_u32 v2, v4, s49
	v_sub_u32_e32 v2, v1, v2
	v_mul_hi_u32 v5, v4, s68
	v_mul_lo_u32 v0, v1, s50
	v_sub_u32_e32 v1, v2, v104
	v_add_u32_e32 v5, v4, v5
	v_add_u32_e32 v22, s95, v20
	v_mul_lo_u32 v21, v1, s72
	v_mul_hi_u32 v1, v22, s86
	v_lshrrev_b32_e32 v10, s52, v5
	v_add_u32_e32 v1, v22, v1
	v_mul_lo_u32 v5, v10, s48
	v_sub_u32_e32 v0, v20, v0
	v_lshrrev_b32_e32 v9, s54, v1
	v_sub_u32_e32 v8, v4, v5
	v_sub_u32_e32 v3, v0, v105
	v_mad_u64_u32 v[0:1], s[0:1], v9, s50, v[0:1]
	v_sub_u32_e32 v5, v8, v116
	v_sub_u32_e32 v4, v10, v115
	v_mul_lo_u32 v23, v5, s94
	v_readlane_b32 s0, v182, 5
	v_mul_lo_u32 v24, v4, s69
	v_mul_lo_u32 v6, v21, s47
	;; [unrolled: 1-line block ×3, first 2 shown]
	v_readlane_b32 s0, v182, 4
	v_mul_lo_u32 v3, v3, s85
	v_mul_hi_u32 v1, s96, v9
	v_mul_lo_u32 v5, v24, s0
	v_add3_u32 v3, v6, v3, v5
	v_add_u32_e32 v1, v9, v1
	v_add3_u32 v11, v3, v4, v137
	v_lshlrev_b32_e32 v3, 1, v11
	v_lshrrev_b32_e32 v1, s53, v1
	s_waitcnt lgkmcnt(0)
	s_barrier
	buffer_load_dwordx4 v[4:7], v3, s[56:59], 0 offen
	v_mad_u64_u32 v[2:3], s[0:1], v1, s49, v[2:3]
	v_sub_u32_e32 v9, v9, v2
	v_mul_hi_u32 v2, v1, s68
	v_add_u32_e32 v2, v1, v2
	v_lshrrev_b32_e32 v12, s52, v2
	v_mad_u64_u32 v[2:3], s[0:1], v12, s48, v[8:9]
	v_sub_u32_e32 v0, v22, v0
	v_sub_u32_e32 v3, v12, v10
	;; [unrolled: 1-line block ×3, first 2 shown]
	v_mul_lo_u32 v0, v0, s85
	v_mul_lo_u32 v25, v9, s72
	;; [unrolled: 1-line block ×6, first 2 shown]
	v_mad_u64_u32 v[0:1], s[0:1], v25, s47, v[0:1]
	v_add3_u32 v0, v0, v2, v3
	v_add_lshl_u32 v0, v0, v11, 1
	v_add_u32_e32 v28, s67, v118
	buffer_load_dwordx4 v[8:11], v0, s[56:59], 0 offen
	v_add_u32_e32 v0, v28, v113
	v_lshlrev_b32_e32 v1, 1, v0
	buffer_load_dwordx4 v[12:15], v1, s[36:39], 0 offen
	v_add_lshl_u32 v0, v0, s91, 1
	buffer_load_dwordx4 v[16:19], v0, s[36:39], 0 offen
	v_add_u32_e32 v21, v21, v117
	v_cmp_gt_i32_e64 s[0:1], s84, v20
	v_cmp_gt_i32_e64 s[6:7], s35, v21
	v_cmp_le_i32_e64 s[4:5], s87, v21
	s_and_b64 s[0:1], s[6:7], s[0:1]
	s_and_b64 s[14:15], s[0:1], s[4:5]
	v_cmp_gt_i32_e64 s[0:1], s84, v22
	v_add_u32_e32 v22, v23, v107
	v_cmp_le_i32_e64 s[4:5], s66, v22
	v_cmp_gt_i32_e64 s[6:7], s65, v22
	v_add_u32_e32 v20, v24, v106
	s_and_b64 s[4:5], s[4:5], s[6:7]
	s_and_b64 s[14:15], s[14:15], s[4:5]
	v_cmp_le_i32_e64 s[4:5], s60, v20
	v_cmp_gt_i32_e64 s[6:7], s61, v20
	s_and_b64 s[4:5], s[4:5], s[6:7]
	s_and_b64 s[4:5], s[4:5], s[14:15]
	s_and_b64 s[4:5], vcc, s[4:5]
	s_and_b32 s13, s10, 0xffff
	s_and_b32 s9, s9, 0xffff
	s_waitcnt vmcnt(3)
	v_cndmask_b32_e64 v3, 0, v4, s[4:5]
	v_add_u32_e32 v4, v25, v21
	v_cmp_gt_i32_e64 s[6:7], s35, v4
	v_cndmask_b32_e64 v0, 0, v7, s[4:5]
	v_cndmask_b32_e64 v1, 0, v6, s[4:5]
	;; [unrolled: 1-line block ×3, first 2 shown]
	v_add_u32_e32 v6, v26, v22
	v_cmp_le_i32_e64 s[4:5], s87, v4
	s_and_b64 s[0:1], s[6:7], s[0:1]
	s_and_b64 s[14:15], s[0:1], s[4:5]
	v_cmp_le_i32_e64 s[0:1], s66, v6
	v_cmp_gt_i32_e64 s[6:7], s65, v6
	v_add_u32_e32 v5, v27, v20
	s_and_b64 s[0:1], s[0:1], s[6:7]
	v_cmp_gt_i32_e64 s[4:5], s61, v5
	s_and_b64 s[6:7], s[14:15], s[0:1]
	v_cmp_le_i32_e64 s[0:1], s60, v5
	s_and_b64 s[0:1], s[0:1], s[4:5]
	s_and_b64 s[0:1], s[0:1], s[6:7]
	s_and_b64 vcc, vcc, s[0:1]
	v_readlane_b32 s0, v182, 2
	s_mov_b32 s15, 0x20000
	v_readlane_b32 s4, v182, 6
	s_waitcnt vmcnt(2)
	v_cndmask_b32_e32 v4, 0, v11, vcc
	v_cndmask_b32_e32 v5, 0, v10, vcc
	;; [unrolled: 1-line block ×4, first 2 shown]
	v_cmp_gt_i32_e32 vcc, s83, v28
	s_and_b64 vcc, s[2:3], vcc
	v_lshl_add_u32 v108, s0, 7, v108
	s_waitcnt vmcnt(1)
	v_cndmask_b32_e32 v11, 0, v12, vcc
	v_add_u32_e32 v12, s91, v28
	v_cndmask_b32_e32 v8, 0, v15, vcc
	v_cndmask_b32_e32 v9, 0, v14, vcc
	;; [unrolled: 1-line block ×3, first 2 shown]
	v_cmp_gt_i32_e32 vcc, s83, v12
	s_and_b64 vcc, s[2:3], vcc
	v_readlane_b32 s0, v182, 3
	s_waitcnt vmcnt(0)
	v_cndmask_b32_e32 v12, 0, v19, vcc
	v_cndmask_b32_e32 v13, 0, v18, vcc
	ds_read_b128 v[18:21], v110
	ds_read_b128 v[22:25], v111 offset:16384
	ds_read_b128 v[26:29], v111 offset:16640
	;; [unrolled: 1-line block ×3, first 2 shown]
	v_cndmask_b32_e32 v14, 0, v17, vcc
	v_cndmask_b32_e32 v15, 0, v16, vcc
	v_lshl_or_b32 v109, s0, 7, v109
	s_waitcnt lgkmcnt(2)
	v_dot2c_f32_f16_e32 v102, v18, v22
	v_dot2c_f32_f16_e32 v103, v18, v23
	;; [unrolled: 1-line block ×16, first 2 shown]
	s_waitcnt lgkmcnt(1)
	v_dot2c_f32_f16_e32 v98, v18, v26
	v_dot2c_f32_f16_e32 v99, v18, v27
	;; [unrolled: 1-line block ×16, first 2 shown]
	ds_read_b128 v[16:19], v110 offset:512
	s_waitcnt lgkmcnt(1)
	v_dot2c_f32_f16_e32 v42, v30, v22
	v_dot2c_f32_f16_e32 v43, v30, v23
	;; [unrolled: 1-line block ×16, first 2 shown]
	ds_read_b128 v[20:23], v111 offset:16896
	v_dot2c_f32_f16_e32 v46, v30, v26
	v_dot2c_f32_f16_e32 v47, v30, v27
	;; [unrolled: 1-line block ×16, first 2 shown]
	ds_read_b128 v[24:27], v111 offset:17152
	ds_read_b128 v[28:31], v110 offset:768
	s_waitcnt lgkmcnt(2)
	v_dot2c_f32_f16_e32 v102, v16, v20
	v_dot2c_f32_f16_e32 v103, v16, v21
	;; [unrolled: 1-line block ×16, first 2 shown]
	s_waitcnt lgkmcnt(1)
	v_dot2c_f32_f16_e32 v98, v16, v24
	v_dot2c_f32_f16_e32 v99, v16, v25
	v_dot2c_f32_f16_e32 v96, v16, v26
	v_dot2c_f32_f16_e32 v97, v16, v27
	v_dot2c_f32_f16_e32 v94, v17, v24
	v_dot2c_f32_f16_e32 v95, v17, v25
	v_dot2c_f32_f16_e32 v92, v17, v26
	v_dot2c_f32_f16_e32 v93, v17, v27
	v_dot2c_f32_f16_e32 v82, v18, v24
	v_dot2c_f32_f16_e32 v83, v18, v25
	v_dot2c_f32_f16_e32 v80, v18, v26
	v_dot2c_f32_f16_e32 v81, v18, v27
	v_dot2c_f32_f16_e32 v78, v19, v24
	v_dot2c_f32_f16_e32 v79, v19, v25
	v_dot2c_f32_f16_e32 v76, v19, v26
	v_dot2c_f32_f16_e32 v77, v19, v27
	ds_read_b128 v[16:19], v110 offset:1024
	s_waitcnt lgkmcnt(1)
	v_dot2c_f32_f16_e32 v42, v28, v20
	v_dot2c_f32_f16_e32 v43, v28, v21
	;; [unrolled: 1-line block ×16, first 2 shown]
	ds_read_b128 v[20:23], v111 offset:17408
	v_dot2c_f32_f16_e32 v46, v28, v24
	v_dot2c_f32_f16_e32 v47, v28, v25
	;; [unrolled: 1-line block ×16, first 2 shown]
	ds_read_b128 v[24:27], v111 offset:17664
	ds_read_b128 v[28:31], v110 offset:1280
	s_waitcnt lgkmcnt(2)
	v_dot2c_f32_f16_e32 v102, v16, v20
	v_dot2c_f32_f16_e32 v103, v16, v21
	;; [unrolled: 1-line block ×16, first 2 shown]
	s_waitcnt lgkmcnt(1)
	v_dot2c_f32_f16_e32 v98, v16, v24
	v_dot2c_f32_f16_e32 v99, v16, v25
	;; [unrolled: 1-line block ×16, first 2 shown]
	ds_read_b128 v[16:19], v110 offset:1536
	s_waitcnt lgkmcnt(1)
	v_dot2c_f32_f16_e32 v42, v28, v20
	v_dot2c_f32_f16_e32 v43, v28, v21
	;; [unrolled: 1-line block ×16, first 2 shown]
	ds_read_b128 v[20:23], v111 offset:17920
	v_dot2c_f32_f16_e32 v46, v28, v24
	v_dot2c_f32_f16_e32 v47, v28, v25
	;; [unrolled: 1-line block ×16, first 2 shown]
	ds_read_b128 v[24:27], v111 offset:18176
	ds_read_b128 v[28:31], v110 offset:1792
	s_waitcnt lgkmcnt(2)
	v_dot2c_f32_f16_e32 v102, v16, v20
	v_dot2c_f32_f16_e32 v103, v16, v21
	;; [unrolled: 1-line block ×16, first 2 shown]
	s_waitcnt lgkmcnt(1)
	v_dot2c_f32_f16_e32 v98, v16, v24
	v_dot2c_f32_f16_e32 v99, v16, v25
	;; [unrolled: 1-line block ×16, first 2 shown]
	ds_read_b128 v[16:19], v110 offset:2048
	s_waitcnt lgkmcnt(1)
	v_dot2c_f32_f16_e32 v42, v28, v20
	v_dot2c_f32_f16_e32 v43, v28, v21
	v_dot2c_f32_f16_e32 v40, v28, v22
	v_dot2c_f32_f16_e32 v41, v28, v23
	v_dot2c_f32_f16_e32 v54, v29, v20
	v_dot2c_f32_f16_e32 v55, v29, v21
	v_dot2c_f32_f16_e32 v52, v29, v22
	v_dot2c_f32_f16_e32 v53, v29, v23
	v_dot2c_f32_f16_e32 v58, v30, v20
	v_dot2c_f32_f16_e32 v59, v30, v21
	v_dot2c_f32_f16_e32 v56, v30, v22
	v_dot2c_f32_f16_e32 v57, v30, v23
	v_dot2c_f32_f16_e32 v64, v31, v20
	v_dot2c_f32_f16_e32 v65, v31, v21
	v_dot2c_f32_f16_e32 v70, v31, v22
	v_dot2c_f32_f16_e32 v71, v31, v23
	ds_read_b128 v[20:23], v111 offset:18432
	v_dot2c_f32_f16_e32 v46, v28, v24
	v_dot2c_f32_f16_e32 v47, v28, v25
	;; [unrolled: 1-line block ×16, first 2 shown]
	ds_read_b128 v[24:27], v111 offset:18688
	ds_read_b128 v[28:31], v110 offset:2304
	s_waitcnt lgkmcnt(2)
	v_dot2c_f32_f16_e32 v102, v16, v20
	v_dot2c_f32_f16_e32 v103, v16, v21
	;; [unrolled: 1-line block ×16, first 2 shown]
	s_waitcnt lgkmcnt(1)
	v_dot2c_f32_f16_e32 v98, v16, v24
	v_dot2c_f32_f16_e32 v99, v16, v25
	;; [unrolled: 1-line block ×16, first 2 shown]
	ds_read_b128 v[16:19], v110 offset:2560
	s_waitcnt lgkmcnt(1)
	v_dot2c_f32_f16_e32 v42, v28, v20
	v_dot2c_f32_f16_e32 v43, v28, v21
	;; [unrolled: 1-line block ×16, first 2 shown]
	ds_read_b128 v[20:23], v111 offset:18944
	v_dot2c_f32_f16_e32 v46, v28, v24
	v_dot2c_f32_f16_e32 v47, v28, v25
	;; [unrolled: 1-line block ×16, first 2 shown]
	ds_read_b128 v[24:27], v111 offset:19200
	ds_read_b128 v[28:31], v110 offset:2816
	s_waitcnt lgkmcnt(2)
	v_dot2c_f32_f16_e32 v102, v16, v20
	v_dot2c_f32_f16_e32 v103, v16, v21
	;; [unrolled: 1-line block ×16, first 2 shown]
	s_waitcnt lgkmcnt(1)
	v_dot2c_f32_f16_e32 v98, v16, v24
	v_dot2c_f32_f16_e32 v99, v16, v25
	v_dot2c_f32_f16_e32 v96, v16, v26
	v_dot2c_f32_f16_e32 v97, v16, v27
	v_dot2c_f32_f16_e32 v94, v17, v24
	v_dot2c_f32_f16_e32 v95, v17, v25
	v_dot2c_f32_f16_e32 v92, v17, v26
	v_dot2c_f32_f16_e32 v93, v17, v27
	v_dot2c_f32_f16_e32 v82, v18, v24
	v_dot2c_f32_f16_e32 v83, v18, v25
	v_dot2c_f32_f16_e32 v80, v18, v26
	v_dot2c_f32_f16_e32 v81, v18, v27
	v_dot2c_f32_f16_e32 v78, v19, v24
	v_dot2c_f32_f16_e32 v79, v19, v25
	v_dot2c_f32_f16_e32 v76, v19, v26
	v_dot2c_f32_f16_e32 v77, v19, v27
	ds_read_b128 v[16:19], v110 offset:3072
	s_waitcnt lgkmcnt(1)
	v_dot2c_f32_f16_e32 v42, v28, v20
	v_dot2c_f32_f16_e32 v43, v28, v21
	;; [unrolled: 1-line block ×16, first 2 shown]
	ds_read_b128 v[20:23], v111 offset:19456
	v_dot2c_f32_f16_e32 v46, v28, v24
	v_dot2c_f32_f16_e32 v47, v28, v25
	;; [unrolled: 1-line block ×16, first 2 shown]
	ds_read_b128 v[24:27], v111 offset:19712
	ds_read_b128 v[28:31], v110 offset:3328
	s_waitcnt lgkmcnt(2)
	v_dot2c_f32_f16_e32 v102, v16, v20
	v_dot2c_f32_f16_e32 v103, v16, v21
	;; [unrolled: 1-line block ×16, first 2 shown]
	s_waitcnt lgkmcnt(1)
	v_dot2c_f32_f16_e32 v98, v16, v24
	v_dot2c_f32_f16_e32 v99, v16, v25
	;; [unrolled: 1-line block ×16, first 2 shown]
	ds_read_b128 v[16:19], v110 offset:3584
	s_waitcnt lgkmcnt(1)
	v_dot2c_f32_f16_e32 v42, v28, v20
	v_dot2c_f32_f16_e32 v43, v28, v21
	;; [unrolled: 1-line block ×16, first 2 shown]
	ds_read_b128 v[20:23], v111 offset:19968
	v_dot2c_f32_f16_e32 v46, v28, v24
	v_dot2c_f32_f16_e32 v47, v28, v25
	;; [unrolled: 1-line block ×16, first 2 shown]
	ds_read_b128 v[24:27], v111 offset:20224
	ds_read_b128 v[28:31], v110 offset:3840
	s_waitcnt lgkmcnt(2)
	v_dot2c_f32_f16_e32 v102, v16, v20
	v_dot2c_f32_f16_e32 v103, v16, v21
	;; [unrolled: 1-line block ×16, first 2 shown]
	s_waitcnt lgkmcnt(1)
	v_dot2c_f32_f16_e32 v98, v16, v24
	v_dot2c_f32_f16_e32 v99, v16, v25
	;; [unrolled: 1-line block ×16, first 2 shown]
	ds_read_b128 v[16:19], v110 offset:4096
	s_waitcnt lgkmcnt(1)
	v_dot2c_f32_f16_e32 v42, v28, v20
	v_dot2c_f32_f16_e32 v43, v28, v21
	;; [unrolled: 1-line block ×16, first 2 shown]
	ds_read_b128 v[20:23], v111 offset:20480
	v_dot2c_f32_f16_e32 v46, v28, v24
	v_dot2c_f32_f16_e32 v47, v28, v25
	;; [unrolled: 1-line block ×16, first 2 shown]
	ds_read_b128 v[24:27], v111 offset:20736
	ds_read_b128 v[28:31], v110 offset:4352
	s_waitcnt lgkmcnt(2)
	v_dot2c_f32_f16_e32 v102, v16, v20
	v_dot2c_f32_f16_e32 v103, v16, v21
	;; [unrolled: 1-line block ×16, first 2 shown]
	s_waitcnt lgkmcnt(1)
	v_dot2c_f32_f16_e32 v98, v16, v24
	v_dot2c_f32_f16_e32 v99, v16, v25
	;; [unrolled: 1-line block ×16, first 2 shown]
	ds_read_b128 v[16:19], v110 offset:4608
	s_waitcnt lgkmcnt(1)
	v_dot2c_f32_f16_e32 v42, v28, v20
	v_dot2c_f32_f16_e32 v43, v28, v21
	;; [unrolled: 1-line block ×16, first 2 shown]
	ds_read_b128 v[20:23], v111 offset:20992
	v_dot2c_f32_f16_e32 v46, v28, v24
	v_dot2c_f32_f16_e32 v47, v28, v25
	;; [unrolled: 1-line block ×16, first 2 shown]
	ds_read_b128 v[24:27], v111 offset:21248
	ds_read_b128 v[28:31], v110 offset:4864
	s_waitcnt lgkmcnt(2)
	v_dot2c_f32_f16_e32 v102, v16, v20
	v_dot2c_f32_f16_e32 v103, v16, v21
	;; [unrolled: 1-line block ×16, first 2 shown]
	s_waitcnt lgkmcnt(1)
	v_dot2c_f32_f16_e32 v98, v16, v24
	v_dot2c_f32_f16_e32 v99, v16, v25
	v_dot2c_f32_f16_e32 v96, v16, v26
	v_dot2c_f32_f16_e32 v97, v16, v27
	v_dot2c_f32_f16_e32 v94, v17, v24
	v_dot2c_f32_f16_e32 v95, v17, v25
	v_dot2c_f32_f16_e32 v92, v17, v26
	v_dot2c_f32_f16_e32 v93, v17, v27
	v_dot2c_f32_f16_e32 v82, v18, v24
	v_dot2c_f32_f16_e32 v83, v18, v25
	v_dot2c_f32_f16_e32 v80, v18, v26
	v_dot2c_f32_f16_e32 v81, v18, v27
	v_dot2c_f32_f16_e32 v78, v19, v24
	v_dot2c_f32_f16_e32 v79, v19, v25
	v_dot2c_f32_f16_e32 v76, v19, v26
	v_dot2c_f32_f16_e32 v77, v19, v27
	ds_read_b128 v[16:19], v110 offset:5120
	s_waitcnt lgkmcnt(1)
	v_dot2c_f32_f16_e32 v42, v28, v20
	v_dot2c_f32_f16_e32 v43, v28, v21
	;; [unrolled: 1-line block ×16, first 2 shown]
	ds_read_b128 v[20:23], v111 offset:21504
	v_dot2c_f32_f16_e32 v46, v28, v24
	v_dot2c_f32_f16_e32 v47, v28, v25
	;; [unrolled: 1-line block ×16, first 2 shown]
	ds_read_b128 v[24:27], v111 offset:21760
	ds_read_b128 v[28:31], v110 offset:5376
	s_waitcnt lgkmcnt(2)
	v_dot2c_f32_f16_e32 v102, v16, v20
	v_dot2c_f32_f16_e32 v103, v16, v21
	;; [unrolled: 1-line block ×16, first 2 shown]
	s_waitcnt lgkmcnt(1)
	v_dot2c_f32_f16_e32 v98, v16, v24
	v_dot2c_f32_f16_e32 v99, v16, v25
	;; [unrolled: 1-line block ×16, first 2 shown]
	ds_read_b128 v[16:19], v110 offset:5632
	s_waitcnt lgkmcnt(1)
	v_dot2c_f32_f16_e32 v42, v28, v20
	v_dot2c_f32_f16_e32 v43, v28, v21
	;; [unrolled: 1-line block ×16, first 2 shown]
	ds_read_b128 v[20:23], v111 offset:22016
	v_dot2c_f32_f16_e32 v46, v28, v24
	v_dot2c_f32_f16_e32 v47, v28, v25
	;; [unrolled: 1-line block ×16, first 2 shown]
	ds_read_b128 v[24:27], v111 offset:22272
	ds_read_b128 v[28:31], v110 offset:5888
	s_waitcnt lgkmcnt(2)
	v_dot2c_f32_f16_e32 v102, v16, v20
	v_dot2c_f32_f16_e32 v103, v16, v21
	;; [unrolled: 1-line block ×16, first 2 shown]
	s_waitcnt lgkmcnt(1)
	v_dot2c_f32_f16_e32 v98, v16, v24
	v_dot2c_f32_f16_e32 v99, v16, v25
	;; [unrolled: 1-line block ×16, first 2 shown]
	ds_read_b128 v[16:19], v110 offset:6144
	s_waitcnt lgkmcnt(1)
	v_dot2c_f32_f16_e32 v42, v28, v20
	v_dot2c_f32_f16_e32 v43, v28, v21
	;; [unrolled: 1-line block ×16, first 2 shown]
	ds_read_b128 v[20:23], v111 offset:22528
	v_dot2c_f32_f16_e32 v46, v28, v24
	v_dot2c_f32_f16_e32 v47, v28, v25
	;; [unrolled: 1-line block ×16, first 2 shown]
	ds_read_b128 v[24:27], v111 offset:22784
	ds_read_b128 v[28:31], v110 offset:6400
	s_waitcnt lgkmcnt(2)
	v_dot2c_f32_f16_e32 v102, v16, v20
	v_dot2c_f32_f16_e32 v103, v16, v21
	;; [unrolled: 1-line block ×16, first 2 shown]
	s_waitcnt lgkmcnt(1)
	v_dot2c_f32_f16_e32 v98, v16, v24
	v_dot2c_f32_f16_e32 v99, v16, v25
	;; [unrolled: 1-line block ×16, first 2 shown]
	ds_read_b128 v[16:19], v110 offset:6656
	s_waitcnt lgkmcnt(1)
	v_dot2c_f32_f16_e32 v42, v28, v20
	v_dot2c_f32_f16_e32 v43, v28, v21
	;; [unrolled: 1-line block ×16, first 2 shown]
	ds_read_b128 v[20:23], v111 offset:23040
	v_dot2c_f32_f16_e32 v46, v28, v24
	v_dot2c_f32_f16_e32 v47, v28, v25
	;; [unrolled: 1-line block ×16, first 2 shown]
	ds_read_b128 v[24:27], v111 offset:23296
	ds_read_b128 v[28:31], v110 offset:6912
	s_waitcnt lgkmcnt(2)
	v_dot2c_f32_f16_e32 v102, v16, v20
	v_dot2c_f32_f16_e32 v103, v16, v21
	;; [unrolled: 1-line block ×16, first 2 shown]
	s_waitcnt lgkmcnt(1)
	v_dot2c_f32_f16_e32 v98, v16, v24
	v_dot2c_f32_f16_e32 v99, v16, v25
	;; [unrolled: 1-line block ×16, first 2 shown]
	ds_read_b128 v[16:19], v110 offset:7168
	s_waitcnt lgkmcnt(1)
	v_dot2c_f32_f16_e32 v42, v28, v20
	v_dot2c_f32_f16_e32 v43, v28, v21
	;; [unrolled: 1-line block ×16, first 2 shown]
	ds_read_b128 v[20:23], v111 offset:23552
	v_dot2c_f32_f16_e32 v46, v28, v24
	v_dot2c_f32_f16_e32 v47, v28, v25
	;; [unrolled: 1-line block ×16, first 2 shown]
	ds_read_b128 v[24:27], v111 offset:23808
	ds_read_b128 v[28:31], v110 offset:7424
	s_waitcnt lgkmcnt(2)
	v_dot2c_f32_f16_e32 v102, v16, v20
	v_dot2c_f32_f16_e32 v103, v16, v21
	;; [unrolled: 1-line block ×16, first 2 shown]
	s_waitcnt lgkmcnt(1)
	v_dot2c_f32_f16_e32 v98, v16, v24
	v_dot2c_f32_f16_e32 v99, v16, v25
	v_dot2c_f32_f16_e32 v96, v16, v26
	v_dot2c_f32_f16_e32 v97, v16, v27
	v_dot2c_f32_f16_e32 v94, v17, v24
	v_dot2c_f32_f16_e32 v95, v17, v25
	v_dot2c_f32_f16_e32 v92, v17, v26
	v_dot2c_f32_f16_e32 v93, v17, v27
	v_dot2c_f32_f16_e32 v82, v18, v24
	v_dot2c_f32_f16_e32 v83, v18, v25
	v_dot2c_f32_f16_e32 v80, v18, v26
	v_dot2c_f32_f16_e32 v81, v18, v27
	v_dot2c_f32_f16_e32 v78, v19, v24
	v_dot2c_f32_f16_e32 v79, v19, v25
	v_dot2c_f32_f16_e32 v76, v19, v26
	v_dot2c_f32_f16_e32 v77, v19, v27
	ds_read_b128 v[16:19], v110 offset:7680
	s_waitcnt lgkmcnt(1)
	v_dot2c_f32_f16_e32 v42, v28, v20
	v_dot2c_f32_f16_e32 v43, v28, v21
	;; [unrolled: 1-line block ×16, first 2 shown]
	ds_read_b128 v[20:23], v111 offset:24064
	v_dot2c_f32_f16_e32 v46, v28, v24
	v_dot2c_f32_f16_e32 v47, v28, v25
	;; [unrolled: 1-line block ×16, first 2 shown]
	ds_read_b128 v[24:27], v111 offset:24320
	ds_read_b128 v[28:31], v110 offset:7936
	ds_write2st64_b32 v112, v3, v2 offset0:32 offset1:34
	ds_write2st64_b32 v112, v1, v0 offset0:36 offset1:38
	;; [unrolled: 1-line block ×8, first 2 shown]
	s_waitcnt lgkmcnt(0)
	s_barrier
	ds_read_b128 v[0:3], v110 offset:8192
	ds_read_b128 v[4:7], v111 offset:24576
	;; [unrolled: 1-line block ×4, first 2 shown]
	v_dot2c_f32_f16_e32 v102, v16, v20
	v_dot2c_f32_f16_e32 v103, v16, v21
	;; [unrolled: 1-line block ×64, first 2 shown]
	s_waitcnt lgkmcnt(2)
	v_dot2c_f32_f16_e32 v102, v0, v4
	v_dot2c_f32_f16_e32 v103, v0, v5
	;; [unrolled: 1-line block ×16, first 2 shown]
	s_waitcnt lgkmcnt(1)
	v_dot2c_f32_f16_e32 v98, v0, v8
	v_dot2c_f32_f16_e32 v99, v0, v9
	;; [unrolled: 1-line block ×16, first 2 shown]
	ds_read_b128 v[0:3], v110 offset:8704
	s_waitcnt lgkmcnt(1)
	v_dot2c_f32_f16_e32 v42, v12, v4
	v_dot2c_f32_f16_e32 v43, v12, v5
	;; [unrolled: 1-line block ×16, first 2 shown]
	ds_read_b128 v[4:7], v111 offset:25088
	v_dot2c_f32_f16_e32 v46, v12, v8
	v_dot2c_f32_f16_e32 v47, v12, v9
	;; [unrolled: 1-line block ×16, first 2 shown]
	ds_read_b128 v[8:11], v111 offset:25344
	ds_read_b128 v[12:15], v110 offset:8960
	s_waitcnt lgkmcnt(2)
	v_dot2c_f32_f16_e32 v102, v0, v4
	v_dot2c_f32_f16_e32 v103, v0, v5
	;; [unrolled: 1-line block ×16, first 2 shown]
	s_waitcnt lgkmcnt(1)
	v_dot2c_f32_f16_e32 v98, v0, v8
	v_dot2c_f32_f16_e32 v99, v0, v9
	;; [unrolled: 1-line block ×16, first 2 shown]
	ds_read_b128 v[0:3], v110 offset:9216
	s_waitcnt lgkmcnt(1)
	v_dot2c_f32_f16_e32 v42, v12, v4
	v_dot2c_f32_f16_e32 v43, v12, v5
	;; [unrolled: 1-line block ×16, first 2 shown]
	ds_read_b128 v[4:7], v111 offset:25600
	v_dot2c_f32_f16_e32 v46, v12, v8
	v_dot2c_f32_f16_e32 v47, v12, v9
	;; [unrolled: 1-line block ×16, first 2 shown]
	ds_read_b128 v[8:11], v111 offset:25856
	ds_read_b128 v[12:15], v110 offset:9472
	s_waitcnt lgkmcnt(2)
	v_dot2c_f32_f16_e32 v102, v0, v4
	v_dot2c_f32_f16_e32 v103, v0, v5
	;; [unrolled: 1-line block ×16, first 2 shown]
	s_waitcnt lgkmcnt(1)
	v_dot2c_f32_f16_e32 v98, v0, v8
	v_dot2c_f32_f16_e32 v99, v0, v9
	;; [unrolled: 1-line block ×16, first 2 shown]
	ds_read_b128 v[0:3], v110 offset:9728
	s_waitcnt lgkmcnt(1)
	v_dot2c_f32_f16_e32 v42, v12, v4
	v_dot2c_f32_f16_e32 v43, v12, v5
	;; [unrolled: 1-line block ×16, first 2 shown]
	ds_read_b128 v[4:7], v111 offset:26112
	v_dot2c_f32_f16_e32 v46, v12, v8
	v_dot2c_f32_f16_e32 v47, v12, v9
	;; [unrolled: 1-line block ×16, first 2 shown]
	ds_read_b128 v[8:11], v111 offset:26368
	ds_read_b128 v[12:15], v110 offset:9984
	s_waitcnt lgkmcnt(2)
	v_dot2c_f32_f16_e32 v102, v0, v4
	v_dot2c_f32_f16_e32 v103, v0, v5
	;; [unrolled: 1-line block ×16, first 2 shown]
	s_waitcnt lgkmcnt(1)
	v_dot2c_f32_f16_e32 v98, v0, v8
	v_dot2c_f32_f16_e32 v99, v0, v9
	;; [unrolled: 1-line block ×16, first 2 shown]
	ds_read_b128 v[0:3], v110 offset:10240
	s_waitcnt lgkmcnt(1)
	v_dot2c_f32_f16_e32 v42, v12, v4
	v_dot2c_f32_f16_e32 v43, v12, v5
	;; [unrolled: 1-line block ×16, first 2 shown]
	ds_read_b128 v[4:7], v111 offset:26624
	v_dot2c_f32_f16_e32 v46, v12, v8
	v_dot2c_f32_f16_e32 v47, v12, v9
	;; [unrolled: 1-line block ×16, first 2 shown]
	ds_read_b128 v[8:11], v111 offset:26880
	ds_read_b128 v[12:15], v110 offset:10496
	s_waitcnt lgkmcnt(2)
	v_dot2c_f32_f16_e32 v102, v0, v4
	v_dot2c_f32_f16_e32 v103, v0, v5
	v_dot2c_f32_f16_e32 v100, v0, v6
	v_dot2c_f32_f16_e32 v101, v0, v7
	v_dot2c_f32_f16_e32 v90, v1, v4
	v_dot2c_f32_f16_e32 v91, v1, v5
	v_dot2c_f32_f16_e32 v88, v1, v6
	v_dot2c_f32_f16_e32 v89, v1, v7
	v_dot2c_f32_f16_e32 v86, v2, v4
	v_dot2c_f32_f16_e32 v87, v2, v5
	v_dot2c_f32_f16_e32 v84, v2, v6
	v_dot2c_f32_f16_e32 v85, v2, v7
	v_dot2c_f32_f16_e32 v74, v3, v4
	v_dot2c_f32_f16_e32 v75, v3, v5
	v_dot2c_f32_f16_e32 v72, v3, v6
	v_dot2c_f32_f16_e32 v73, v3, v7
	s_waitcnt lgkmcnt(1)
	v_dot2c_f32_f16_e32 v98, v0, v8
	v_dot2c_f32_f16_e32 v99, v0, v9
	;; [unrolled: 1-line block ×16, first 2 shown]
	ds_read_b128 v[0:3], v110 offset:10752
	s_waitcnt lgkmcnt(1)
	v_dot2c_f32_f16_e32 v42, v12, v4
	v_dot2c_f32_f16_e32 v43, v12, v5
	;; [unrolled: 1-line block ×16, first 2 shown]
	ds_read_b128 v[4:7], v111 offset:27136
	v_dot2c_f32_f16_e32 v46, v12, v8
	v_dot2c_f32_f16_e32 v47, v12, v9
	;; [unrolled: 1-line block ×16, first 2 shown]
	ds_read_b128 v[8:11], v111 offset:27392
	ds_read_b128 v[12:15], v110 offset:11008
	s_waitcnt lgkmcnt(2)
	v_dot2c_f32_f16_e32 v102, v0, v4
	v_dot2c_f32_f16_e32 v103, v0, v5
	;; [unrolled: 1-line block ×16, first 2 shown]
	s_waitcnt lgkmcnt(1)
	v_dot2c_f32_f16_e32 v98, v0, v8
	v_dot2c_f32_f16_e32 v99, v0, v9
	;; [unrolled: 1-line block ×16, first 2 shown]
	ds_read_b128 v[0:3], v110 offset:11264
	s_waitcnt lgkmcnt(1)
	v_dot2c_f32_f16_e32 v42, v12, v4
	v_dot2c_f32_f16_e32 v43, v12, v5
	;; [unrolled: 1-line block ×16, first 2 shown]
	ds_read_b128 v[4:7], v111 offset:27648
	v_dot2c_f32_f16_e32 v46, v12, v8
	v_dot2c_f32_f16_e32 v47, v12, v9
	;; [unrolled: 1-line block ×16, first 2 shown]
	ds_read_b128 v[8:11], v111 offset:27904
	ds_read_b128 v[12:15], v110 offset:11520
	s_waitcnt lgkmcnt(2)
	v_dot2c_f32_f16_e32 v102, v0, v4
	v_dot2c_f32_f16_e32 v103, v0, v5
	;; [unrolled: 1-line block ×16, first 2 shown]
	s_waitcnt lgkmcnt(1)
	v_dot2c_f32_f16_e32 v98, v0, v8
	v_dot2c_f32_f16_e32 v99, v0, v9
	;; [unrolled: 1-line block ×16, first 2 shown]
	ds_read_b128 v[0:3], v110 offset:11776
	s_waitcnt lgkmcnt(1)
	v_dot2c_f32_f16_e32 v42, v12, v4
	v_dot2c_f32_f16_e32 v43, v12, v5
	;; [unrolled: 1-line block ×16, first 2 shown]
	ds_read_b128 v[4:7], v111 offset:28160
	v_dot2c_f32_f16_e32 v46, v12, v8
	v_dot2c_f32_f16_e32 v47, v12, v9
	;; [unrolled: 1-line block ×16, first 2 shown]
	ds_read_b128 v[8:11], v111 offset:28416
	ds_read_b128 v[12:15], v110 offset:12032
	s_waitcnt lgkmcnt(2)
	v_dot2c_f32_f16_e32 v102, v0, v4
	v_dot2c_f32_f16_e32 v103, v0, v5
	;; [unrolled: 1-line block ×16, first 2 shown]
	s_waitcnt lgkmcnt(1)
	v_dot2c_f32_f16_e32 v98, v0, v8
	v_dot2c_f32_f16_e32 v99, v0, v9
	;; [unrolled: 1-line block ×16, first 2 shown]
	ds_read_b128 v[0:3], v110 offset:12288
	s_waitcnt lgkmcnt(1)
	v_dot2c_f32_f16_e32 v42, v12, v4
	v_dot2c_f32_f16_e32 v43, v12, v5
	;; [unrolled: 1-line block ×16, first 2 shown]
	ds_read_b128 v[4:7], v111 offset:28672
	v_dot2c_f32_f16_e32 v46, v12, v8
	v_dot2c_f32_f16_e32 v47, v12, v9
	;; [unrolled: 1-line block ×16, first 2 shown]
	ds_read_b128 v[8:11], v111 offset:28928
	ds_read_b128 v[12:15], v110 offset:12544
	s_waitcnt lgkmcnt(2)
	v_dot2c_f32_f16_e32 v102, v0, v4
	v_dot2c_f32_f16_e32 v103, v0, v5
	;; [unrolled: 1-line block ×16, first 2 shown]
	s_waitcnt lgkmcnt(1)
	v_dot2c_f32_f16_e32 v98, v0, v8
	v_dot2c_f32_f16_e32 v99, v0, v9
	;; [unrolled: 1-line block ×16, first 2 shown]
	ds_read_b128 v[0:3], v110 offset:12800
	s_waitcnt lgkmcnt(1)
	v_dot2c_f32_f16_e32 v42, v12, v4
	v_dot2c_f32_f16_e32 v43, v12, v5
	;; [unrolled: 1-line block ×16, first 2 shown]
	ds_read_b128 v[4:7], v111 offset:29184
	v_dot2c_f32_f16_e32 v46, v12, v8
	v_dot2c_f32_f16_e32 v47, v12, v9
	;; [unrolled: 1-line block ×16, first 2 shown]
	ds_read_b128 v[8:11], v111 offset:29440
	ds_read_b128 v[12:15], v110 offset:13056
	s_waitcnt lgkmcnt(2)
	v_dot2c_f32_f16_e32 v102, v0, v4
	v_dot2c_f32_f16_e32 v103, v0, v5
	;; [unrolled: 1-line block ×16, first 2 shown]
	s_waitcnt lgkmcnt(1)
	v_dot2c_f32_f16_e32 v98, v0, v8
	v_dot2c_f32_f16_e32 v99, v0, v9
	;; [unrolled: 1-line block ×16, first 2 shown]
	ds_read_b128 v[0:3], v110 offset:13312
	s_waitcnt lgkmcnt(1)
	v_dot2c_f32_f16_e32 v42, v12, v4
	v_dot2c_f32_f16_e32 v43, v12, v5
	;; [unrolled: 1-line block ×16, first 2 shown]
	ds_read_b128 v[4:7], v111 offset:29696
	v_dot2c_f32_f16_e32 v46, v12, v8
	v_dot2c_f32_f16_e32 v47, v12, v9
	;; [unrolled: 1-line block ×16, first 2 shown]
	ds_read_b128 v[8:11], v111 offset:29952
	ds_read_b128 v[12:15], v110 offset:13568
	s_waitcnt lgkmcnt(2)
	v_dot2c_f32_f16_e32 v102, v0, v4
	v_dot2c_f32_f16_e32 v103, v0, v5
	;; [unrolled: 1-line block ×16, first 2 shown]
	s_waitcnt lgkmcnt(1)
	v_dot2c_f32_f16_e32 v98, v0, v8
	v_dot2c_f32_f16_e32 v99, v0, v9
	;; [unrolled: 1-line block ×16, first 2 shown]
	ds_read_b128 v[0:3], v110 offset:13824
	s_waitcnt lgkmcnt(1)
	v_dot2c_f32_f16_e32 v42, v12, v4
	v_dot2c_f32_f16_e32 v43, v12, v5
	;; [unrolled: 1-line block ×16, first 2 shown]
	ds_read_b128 v[4:7], v111 offset:30208
	v_dot2c_f32_f16_e32 v46, v12, v8
	v_dot2c_f32_f16_e32 v47, v12, v9
	;; [unrolled: 1-line block ×16, first 2 shown]
	ds_read_b128 v[8:11], v111 offset:30464
	ds_read_b128 v[12:15], v110 offset:14080
	s_waitcnt lgkmcnt(2)
	v_dot2c_f32_f16_e32 v102, v0, v4
	v_dot2c_f32_f16_e32 v103, v0, v5
	;; [unrolled: 1-line block ×16, first 2 shown]
	s_waitcnt lgkmcnt(1)
	v_dot2c_f32_f16_e32 v98, v0, v8
	v_dot2c_f32_f16_e32 v99, v0, v9
	;; [unrolled: 1-line block ×16, first 2 shown]
	ds_read_b128 v[0:3], v110 offset:14336
	s_waitcnt lgkmcnt(1)
	v_dot2c_f32_f16_e32 v42, v12, v4
	v_dot2c_f32_f16_e32 v43, v12, v5
	;; [unrolled: 1-line block ×16, first 2 shown]
	ds_read_b128 v[4:7], v111 offset:30720
	v_dot2c_f32_f16_e32 v46, v12, v8
	v_dot2c_f32_f16_e32 v47, v12, v9
	;; [unrolled: 1-line block ×16, first 2 shown]
	ds_read_b128 v[8:11], v111 offset:30976
	ds_read_b128 v[12:15], v110 offset:14592
	s_waitcnt lgkmcnt(2)
	v_dot2c_f32_f16_e32 v102, v0, v4
	v_dot2c_f32_f16_e32 v103, v0, v5
	;; [unrolled: 1-line block ×16, first 2 shown]
	s_waitcnt lgkmcnt(1)
	v_dot2c_f32_f16_e32 v98, v0, v8
	v_dot2c_f32_f16_e32 v99, v0, v9
	;; [unrolled: 1-line block ×16, first 2 shown]
	ds_read_b128 v[0:3], v110 offset:14848
	s_waitcnt lgkmcnt(1)
	v_dot2c_f32_f16_e32 v42, v12, v4
	v_dot2c_f32_f16_e32 v43, v12, v5
	;; [unrolled: 1-line block ×16, first 2 shown]
	ds_read_b128 v[4:7], v111 offset:31232
	v_dot2c_f32_f16_e32 v46, v12, v8
	v_dot2c_f32_f16_e32 v47, v12, v9
	;; [unrolled: 1-line block ×16, first 2 shown]
	ds_read_b128 v[8:11], v111 offset:31488
	ds_read_b128 v[12:15], v110 offset:15104
	s_waitcnt lgkmcnt(2)
	v_dot2c_f32_f16_e32 v102, v0, v4
	v_dot2c_f32_f16_e32 v103, v0, v5
	v_dot2c_f32_f16_e32 v100, v0, v6
	v_dot2c_f32_f16_e32 v101, v0, v7
	v_dot2c_f32_f16_e32 v90, v1, v4
	v_dot2c_f32_f16_e32 v91, v1, v5
	v_dot2c_f32_f16_e32 v88, v1, v6
	v_dot2c_f32_f16_e32 v89, v1, v7
	v_dot2c_f32_f16_e32 v86, v2, v4
	v_dot2c_f32_f16_e32 v87, v2, v5
	v_dot2c_f32_f16_e32 v84, v2, v6
	v_dot2c_f32_f16_e32 v85, v2, v7
	v_dot2c_f32_f16_e32 v74, v3, v4
	v_dot2c_f32_f16_e32 v75, v3, v5
	v_dot2c_f32_f16_e32 v72, v3, v6
	v_dot2c_f32_f16_e32 v73, v3, v7
	s_waitcnt lgkmcnt(1)
	v_dot2c_f32_f16_e32 v98, v0, v8
	v_dot2c_f32_f16_e32 v99, v0, v9
	;; [unrolled: 1-line block ×16, first 2 shown]
	ds_read_b128 v[0:3], v110 offset:15360
	s_waitcnt lgkmcnt(1)
	v_dot2c_f32_f16_e32 v42, v12, v4
	v_dot2c_f32_f16_e32 v43, v12, v5
	v_dot2c_f32_f16_e32 v40, v12, v6
	v_dot2c_f32_f16_e32 v41, v12, v7
	v_dot2c_f32_f16_e32 v54, v13, v4
	v_dot2c_f32_f16_e32 v55, v13, v5
	v_dot2c_f32_f16_e32 v52, v13, v6
	v_dot2c_f32_f16_e32 v53, v13, v7
	v_dot2c_f32_f16_e32 v58, v14, v4
	v_dot2c_f32_f16_e32 v59, v14, v5
	v_dot2c_f32_f16_e32 v56, v14, v6
	v_dot2c_f32_f16_e32 v57, v14, v7
	v_dot2c_f32_f16_e32 v64, v15, v4
	v_dot2c_f32_f16_e32 v65, v15, v5
	v_dot2c_f32_f16_e32 v70, v15, v6
	v_dot2c_f32_f16_e32 v71, v15, v7
	ds_read_b128 v[4:7], v111 offset:31744
	v_dot2c_f32_f16_e32 v46, v12, v8
	v_dot2c_f32_f16_e32 v47, v12, v9
	v_dot2c_f32_f16_e32 v44, v12, v10
	v_dot2c_f32_f16_e32 v45, v12, v11
	v_dot2c_f32_f16_e32 v50, v13, v8
	v_dot2c_f32_f16_e32 v51, v13, v9
	v_dot2c_f32_f16_e32 v48, v13, v10
	v_dot2c_f32_f16_e32 v49, v13, v11
	v_dot2c_f32_f16_e32 v62, v14, v8
	v_dot2c_f32_f16_e32 v63, v14, v9
	v_dot2c_f32_f16_e32 v60, v14, v10
	v_dot2c_f32_f16_e32 v61, v14, v11
	v_dot2c_f32_f16_e32 v68, v15, v8
	v_dot2c_f32_f16_e32 v69, v15, v9
	v_dot2c_f32_f16_e32 v66, v15, v10
	v_dot2c_f32_f16_e32 v67, v15, v11
	ds_read_b128 v[8:11], v111 offset:32000
	ds_read_b128 v[12:15], v110 offset:15616
	s_waitcnt lgkmcnt(2)
	v_dot2c_f32_f16_e32 v102, v0, v4
	v_dot2c_f32_f16_e32 v103, v0, v5
	;; [unrolled: 1-line block ×16, first 2 shown]
	s_waitcnt lgkmcnt(1)
	v_dot2c_f32_f16_e32 v98, v0, v8
	v_dot2c_f32_f16_e32 v99, v0, v9
	;; [unrolled: 1-line block ×16, first 2 shown]
	ds_read_b128 v[16:19], v110 offset:15872
	ds_read_b128 v[0:3], v111 offset:32256
	s_waitcnt lgkmcnt(2)
	v_dot2c_f32_f16_e32 v42, v12, v4
	v_dot2c_f32_f16_e32 v43, v12, v5
	;; [unrolled: 1-line block ×8, first 2 shown]
	v_mul_lo_u32 v12, v109, s62
	v_dot2c_f32_f16_e32 v54, v13, v4
	v_dot2c_f32_f16_e32 v55, v13, v5
	;; [unrolled: 1-line block ×24, first 2 shown]
	ds_read_b128 v[4:7], v111 offset:32512
	ds_read_b128 v[8:11], v110 offset:16128
	v_mad_u64_u32 v[12:13], s[0:1], v108, s63, v[12:13]
	v_add_u32_e32 v20, s62, v12
	v_readlane_b32 s0, v182, 7
	s_lshl_b32 s2, s63, 6
	v_add_u32_e32 v24, s62, v20
	s_lshl_b32 s14, s0, 1
	v_lshlrev_b32_e32 v13, 1, v12
	v_add_lshl_u32 v22, v24, s2, 1
	s_waitcnt lgkmcnt(2)
	v_dot2c_f32_f16_e32 v86, v18, v0
	v_dot2c_f32_f16_e32 v87, v18, v1
	;; [unrolled: 1-line block ×4, first 2 shown]
	s_waitcnt lgkmcnt(1)
	v_dot2c_f32_f16_e32 v82, v18, v4
	v_dot2c_f32_f16_e32 v83, v18, v5
	;; [unrolled: 1-line block ×3, first 2 shown]
	buffer_load_dwordx2 v[14:15], v13, s[12:15], 0 offen
	v_dot2c_f32_f16_e32 v81, v18, v7
	v_add_lshl_u32 v18, v20, s2, 1
	buffer_load_dwordx2 v[22:23], v22, s[12:15], 0 offen
	v_add_lshl_u32 v13, v12, s2, 1
	v_lshlrev_b32_e32 v12, 1, v20
	v_lshlrev_b32_e32 v20, 1, v24
	v_add_u32_e32 v24, s62, v24
	v_lshlrev_b32_e32 v25, 1, v24
	v_dot2c_f32_f16_e32 v74, v19, v0
	v_dot2c_f32_f16_e32 v75, v19, v1
	;; [unrolled: 1-line block ×4, first 2 shown]
	v_readlane_b32 s1, v182, 8
	v_dot2c_f32_f16_e32 v78, v19, v4
	v_dot2c_f32_f16_e32 v79, v19, v5
	;; [unrolled: 1-line block ×4, first 2 shown]
	buffer_load_dwordx2 v[18:19], v18, s[12:15], 0 offen
	v_dot2c_f32_f16_e32 v102, v16, v0
	buffer_load_dwordx2 v[26:27], v25, s[12:15], 0 offen
	v_add_lshl_u32 v25, v24, s2, 1
	v_dot2c_f32_f16_e32 v103, v16, v1
	v_dot2c_f32_f16_e32 v100, v16, v2
	;; [unrolled: 1-line block ×15, first 2 shown]
	buffer_load_dwordx2 v[16:17], v13, s[12:15], 0 offen
	buffer_load_dwordx2 v[28:29], v25, s[12:15], 0 offen
	v_mad_u64_u32 v[24:25], s[0:1], s62, 61, v[24:25]
	v_add_u32_e32 v36, s62, v24
	s_waitcnt lgkmcnt(0)
	v_dot2c_f32_f16_e32 v42, v8, v0
	v_dot2c_f32_f16_e32 v54, v9, v0
	v_lshlrev_b32_e32 v25, 1, v24
	v_dot2c_f32_f16_e32 v58, v10, v0
	v_dot2c_f32_f16_e32 v64, v11, v0
	v_add_u32_e32 v0, s62, v36
	buffer_load_dwordx2 v[30:31], v25, s[12:15], 0 offen
	v_add_lshl_u32 v25, v24, s2, 1
	v_lshlrev_b32_e32 v24, 1, v36
	v_add_lshl_u32 v34, v36, s2, 1
	v_lshlrev_b32_e32 v36, 1, v0
	buffer_load_dwordx2 v[32:33], v25, s[12:15], 0 offen
	v_dot2c_f32_f16_e32 v43, v8, v1
	buffer_load_dwordx2 v[24:25], v24, s[12:15], 0 offen
	v_dot2c_f32_f16_e32 v55, v9, v1
	;; [unrolled: 2-line block ×4, first 2 shown]
	buffer_load_dwordx2 v[20:21], v20, s[12:15], 0 offen
	v_add_lshl_u32 v1, v0, s2, 1
	buffer_load_dwordx2 v[34:35], v34, s[12:15], 0 offen
	v_add_u32_e32 v0, s62, v0
	buffer_load_dwordx2 v[38:39], v1, s[12:15], 0 offen
	v_lshlrev_b32_e32 v1, 1, v0
	buffer_load_dwordx2 v[104:105], v1, s[12:15], 0 offen
	v_add_lshl_u32 v0, v0, s2, 1
	buffer_load_dwordx2 v[106:107], v0, s[12:15], 0 offen
	v_cmp_gt_i32_e32 vcc, s4, v108
	v_cmp_gt_i32_e64 s[0:1], s73, v109
	s_and_b64 s[2:3], s[0:1], vcc
	v_dot2c_f32_f16_e32 v45, v8, v7
	v_dot2c_f32_f16_e32 v49, v9, v7
	;; [unrolled: 1-line block ×7, first 2 shown]
	s_waitcnt vmcnt(15)
	v_cndmask_b32_e64 v7, 0, v14, s[2:3]
	v_add_u32_e32 v14, 64, v108
	v_dot2c_f32_f16_e32 v69, v11, v5
	v_dot2c_f32_f16_e32 v66, v11, v6
	v_cndmask_b32_e64 v11, 0, v15, s[2:3]
	v_cmp_gt_i32_e64 s[2:3], s4, v14
	s_and_b64 s[0:1], s[0:1], s[2:3]
	v_or_b32_e32 v110, 2, v109
	v_or_b32_e32 v111, 3, v109
	;; [unrolled: 1-line block ×3, first 2 shown]
	v_dot2c_f32_f16_e32 v41, v8, v3
	v_dot2c_f32_f16_e32 v53, v9, v3
	;; [unrolled: 1-line block ×3, first 2 shown]
	v_add_u32_e32 v3, 0x41, v109
	v_dot2c_f32_f16_e32 v46, v8, v4
	v_dot2c_f32_f16_e32 v47, v8, v5
	;; [unrolled: 1-line block ×12, first 2 shown]
	v_cvt_f32_f16_e32 v6, v7
	v_cvt_f32_f16_sdwa v7, v7 dst_sel:DWORD dst_unused:UNUSED_PAD src0_sel:WORD_1
	v_cvt_f32_f16_e32 v10, v11
	v_cvt_f32_f16_sdwa v11, v11 dst_sel:DWORD dst_unused:UNUSED_PAD src0_sel:WORD_1
	v_mul_lo_u32 v8, v109, s30
	v_pk_add_f32 v[6:7], v[102:103], v[6:7]
	s_mov_b32 s11, s15
	v_max_f32_e32 v7, 0, v7
	v_max_f32_e32 v6, 0, v6
	v_pk_add_f32 v[10:11], v[100:101], v[10:11]
	v_cvt_pk_f16_f32 v6, v6, v7
	s_waitcnt vmcnt(11)
	v_cndmask_b32_e64 v15, 0, v17, s[0:1]
	v_or_b32_e32 v17, 1, v109
	v_cndmask_b32_e64 v16, 0, v16, s[0:1]
	v_cmp_gt_i32_e64 s[0:1], s73, v17
	s_and_b64 s[4:5], s[0:1], vcc
	s_and_b64 s[0:1], s[0:1], s[2:3]
	v_cndmask_b32_e64 v19, 0, v19, s[0:1]
	v_cndmask_b32_e64 v18, 0, v18, s[0:1]
	v_cmp_gt_i32_e64 s[0:1], s73, v110
	v_max_f32_e32 v7, 0, v11
	v_cvt_f32_f16_sdwa v11, v16 dst_sel:DWORD dst_unused:UNUSED_PAD src0_sel:WORD_1
	v_bfrev_b32_e32 v100, 1
	s_waitcnt vmcnt(5)
	v_cndmask_b32_e64 v13, 0, v13, s[4:5]
	v_cndmask_b32_e64 v12, 0, v12, s[4:5]
	s_and_b64 s[4:5], s[0:1], vcc
	s_and_b64 s[0:1], s[0:1], s[2:3]
	v_cndmask_b32_e64 v23, 0, v23, s[0:1]
	v_cndmask_b32_e64 v22, 0, v22, s[0:1]
	v_cmp_gt_i32_e64 s[0:1], s73, v111
	s_waitcnt vmcnt(4)
	v_cndmask_b32_e64 v21, 0, v21, s[4:5]
	v_cndmask_b32_e64 v20, 0, v20, s[4:5]
	s_and_b64 s[4:5], s[0:1], vcc
	s_and_b64 s[0:1], s[0:1], s[2:3]
	v_cndmask_b32_e64 v29, 0, v29, s[0:1]
	v_cndmask_b32_e64 v28, 0, v28, s[0:1]
	v_cmp_gt_i32_e64 s[0:1], s73, v0
	v_cndmask_b32_e64 v27, 0, v27, s[4:5]
	v_cndmask_b32_e64 v26, 0, v26, s[4:5]
	s_and_b64 s[4:5], s[0:1], vcc
	s_and_b64 s[0:1], s[0:1], s[2:3]
	v_cndmask_b32_e64 v4, 0, v33, s[0:1]
	v_cndmask_b32_e64 v5, 0, v32, s[0:1]
	v_cmp_gt_i32_e64 s[0:1], s73, v3
	v_cndmask_b32_e64 v1, 0, v31, s[4:5]
	v_cndmask_b32_e64 v2, 0, v30, s[4:5]
	s_and_b64 s[4:5], s[0:1], vcc
	s_and_b64 s[0:1], s[0:1], s[2:3]
	v_add_u32_e32 v32, 0x42, v109
	s_waitcnt vmcnt(3)
	v_cndmask_b32_e64 v30, 0, v35, s[0:1]
	v_cndmask_b32_e64 v31, 0, v34, s[0:1]
	v_cmp_gt_i32_e64 s[0:1], s73, v32
	v_cndmask_b32_e64 v25, 0, v25, s[4:5]
	v_cndmask_b32_e64 v24, 0, v24, s[4:5]
	s_and_b64 s[4:5], s[0:1], vcc
	v_cndmask_b32_e64 v33, 0, v37, s[4:5]
	s_and_b64 s[0:1], s[0:1], s[2:3]
	v_add_u32_e32 v37, 0x43, v109
	v_cndmask_b32_e64 v34, 0, v36, s[4:5]
	s_waitcnt vmcnt(2)
	v_cndmask_b32_e64 v35, 0, v39, s[0:1]
	v_cndmask_b32_e64 v36, 0, v38, s[0:1]
	v_cmp_gt_i32_e64 s[0:1], s73, v37
	s_and_b64 vcc, s[0:1], vcc
	s_waitcnt vmcnt(1)
	v_cndmask_b32_e32 v38, 0, v105, vcc
	v_cndmask_b32_e32 v39, 0, v104, vcc
	s_and_b64 vcc, s[0:1], s[2:3]
	v_mad_u64_u32 v[8:9], s[0:1], v108, s31, v[8:9]
	v_readlane_b32 s5, v182, 9
	v_readlane_b32 s0, v182, 10
	s_waitcnt vmcnt(0)
	v_cndmask_b32_e32 v104, 0, v107, vcc
	v_cndmask_b32_e32 v105, 0, v106, vcc
	v_max_f32_e32 v9, 0, v10
	v_cmp_gt_i32_e32 vcc, s5, v108
	v_cmp_gt_i32_e64 s[2:3], s33, v109
	v_readlane_b32 s1, v182, 11
	v_cvt_f32_f16_e32 v10, v16
	s_lshl_b32 s10, s0, 1
	s_and_b64 s[0:1], s[2:3], vcc
	v_cvt_pk_f16_f32 v7, v9, v7
	v_cndmask_b32_e64 v9, v100, 0, s[0:1]
	v_lshl_add_u32 v9, v8, 1, v9
	buffer_store_dwordx2 v[6:7], v9, s[8:11], 0 offen
	v_pk_add_f32 v[6:7], v[98:99], v[10:11]
	v_cvt_f32_f16_e32 v10, v15
	v_cvt_f32_f16_sdwa v11, v15 dst_sel:DWORD dst_unused:UNUSED_PAD src0_sel:WORD_1
	v_max_f32_e32 v7, 0, v7
	v_max_f32_e32 v6, 0, v6
	v_cvt_pk_f16_f32 v6, v6, v7
	v_pk_add_f32 v[10:11], v[96:97], v[10:11]
	v_cmp_gt_i32_e64 s[0:1], s5, v14
	v_max_f32_e32 v7, 0, v11
	v_max_f32_e32 v10, 0, v10
	v_cvt_pk_f16_f32 v7, v10, v7
	v_cvt_f32_f16_e32 v10, v18
	v_cvt_f32_f16_sdwa v11, v18 dst_sel:DWORD dst_unused:UNUSED_PAD src0_sel:WORD_1
	s_lshl_b32 s4, s31, 6
	s_and_b64 s[2:3], s[2:3], s[0:1]
	v_add_u32_e32 v9, s4, v8
	v_cndmask_b32_e64 v14, v100, 0, s[2:3]
	v_lshl_add_u32 v14, v9, 1, v14
	buffer_store_dwordx2 v[6:7], v14, s[8:11], 0 offen
	v_pk_add_f32 v[6:7], v[94:95], v[10:11]
	v_cvt_f32_f16_e32 v10, v19
	v_cvt_f32_f16_sdwa v11, v19 dst_sel:DWORD dst_unused:UNUSED_PAD src0_sel:WORD_1
	v_max_f32_e32 v7, 0, v7
	v_max_f32_e32 v6, 0, v6
	v_cmp_gt_i32_e64 s[2:3], s33, v17
	v_pk_add_f32 v[10:11], v[92:93], v[10:11]
	v_add_u32_e32 v14, s30, v9
	v_cvt_pk_f16_f32 v6, v6, v7
	v_max_f32_e32 v7, 0, v11
	v_max_f32_e32 v9, 0, v10
	s_and_b64 s[6:7], s[2:3], s[0:1]
	v_cvt_pk_f16_f32 v7, v9, v7
	v_cndmask_b32_e64 v9, v100, 0, s[6:7]
	v_cvt_f32_f16_e32 v10, v12
	v_cvt_f32_f16_sdwa v11, v12 dst_sel:DWORD dst_unused:UNUSED_PAD src0_sel:WORD_1
	v_lshl_add_u32 v9, v14, 1, v9
	buffer_store_dwordx2 v[6:7], v9, s[8:11], 0 offen
	v_add_u32_e32 v12, s30, v8
	v_cvt_f32_f16_e32 v8, v13
	v_cvt_f32_f16_sdwa v9, v13 dst_sel:DWORD dst_unused:UNUSED_PAD src0_sel:WORD_1
	v_pk_add_f32 v[6:7], v[90:91], v[10:11]
	s_and_b64 s[2:3], s[2:3], vcc
	v_max_f32_e32 v7, 0, v7
	v_max_f32_e32 v6, 0, v6
	v_pk_add_f32 v[8:9], v[88:89], v[8:9]
	v_cvt_pk_f16_f32 v6, v6, v7
	v_max_f32_e32 v7, 0, v9
	v_max_f32_e32 v8, 0, v8
	v_cvt_pk_f16_f32 v7, v8, v7
	v_cvt_f32_f16_e32 v8, v20
	v_cvt_f32_f16_sdwa v9, v20 dst_sel:DWORD dst_unused:UNUSED_PAD src0_sel:WORD_1
	v_cndmask_b32_e64 v10, v100, 0, s[2:3]
	v_lshl_add_u32 v10, v12, 1, v10
	buffer_store_dwordx2 v[6:7], v10, s[8:11], 0 offen
	v_pk_add_f32 v[6:7], v[86:87], v[8:9]
	v_cvt_f32_f16_e32 v8, v21
	v_cvt_f32_f16_sdwa v9, v21 dst_sel:DWORD dst_unused:UNUSED_PAD src0_sel:WORD_1
	v_max_f32_e32 v7, 0, v7
	v_max_f32_e32 v6, 0, v6
	v_cvt_pk_f16_f32 v6, v6, v7
	v_pk_add_f32 v[8:9], v[84:85], v[8:9]
	v_cmp_gt_i32_e64 s[2:3], s33, v110
	v_max_f32_e32 v7, 0, v9
	v_max_f32_e32 v8, 0, v8
	v_cvt_pk_f16_f32 v7, v8, v7
	v_cvt_f32_f16_e32 v8, v22
	v_cvt_f32_f16_sdwa v9, v22 dst_sel:DWORD dst_unused:UNUSED_PAD src0_sel:WORD_1
	s_and_b64 s[6:7], s[2:3], vcc
	v_add_u32_e32 v10, s30, v12
	v_cndmask_b32_e64 v11, v100, 0, s[6:7]
	v_lshl_add_u32 v10, v10, 1, v11
	buffer_store_dwordx2 v[6:7], v10, s[8:11], 0 offen
	v_pk_add_f32 v[6:7], v[82:83], v[8:9]
	v_cvt_f32_f16_e32 v8, v23
	v_cvt_f32_f16_sdwa v9, v23 dst_sel:DWORD dst_unused:UNUSED_PAD src0_sel:WORD_1
	v_max_f32_e32 v7, 0, v7
	v_max_f32_e32 v6, 0, v6
	v_cvt_pk_f16_f32 v6, v6, v7
	v_pk_add_f32 v[8:9], v[80:81], v[8:9]
	s_and_b64 s[2:3], s[2:3], s[0:1]
	v_max_f32_e32 v7, 0, v9
	v_max_f32_e32 v8, 0, v8
	v_cvt_pk_f16_f32 v7, v8, v7
	v_cvt_f32_f16_e32 v8, v28
	v_cvt_f32_f16_sdwa v9, v28 dst_sel:DWORD dst_unused:UNUSED_PAD src0_sel:WORD_1
	v_add_u32_e32 v10, s30, v14
	v_cndmask_b32_e64 v11, v100, 0, s[2:3]
	v_lshl_add_u32 v11, v10, 1, v11
	buffer_store_dwordx2 v[6:7], v11, s[8:11], 0 offen
	v_pk_add_f32 v[6:7], v[78:79], v[8:9]
	v_cvt_f32_f16_e32 v8, v29
	v_cvt_f32_f16_sdwa v9, v29 dst_sel:DWORD dst_unused:UNUSED_PAD src0_sel:WORD_1
	v_max_f32_e32 v7, 0, v7
	v_max_f32_e32 v6, 0, v6
	v_cvt_pk_f16_f32 v6, v6, v7
	v_pk_add_f32 v[8:9], v[76:77], v[8:9]
	v_cmp_gt_i32_e64 s[2:3], s33, v111
	v_max_f32_e32 v7, 0, v9
	v_max_f32_e32 v8, 0, v8
	v_cvt_pk_f16_f32 v7, v8, v7
	v_cvt_f32_f16_e32 v8, v26
	v_cvt_f32_f16_sdwa v9, v26 dst_sel:DWORD dst_unused:UNUSED_PAD src0_sel:WORD_1
	s_and_b64 s[6:7], s[2:3], s[0:1]
	v_add_u32_e32 v11, s30, v10
	v_cndmask_b32_e64 v12, v100, 0, s[6:7]
	v_lshl_add_u32 v12, v11, 1, v12
	buffer_store_dwordx2 v[6:7], v12, s[8:11], 0 offen
	v_pk_add_f32 v[6:7], v[74:75], v[8:9]
	v_cvt_f32_f16_e32 v8, v27
	v_cvt_f32_f16_sdwa v9, v27 dst_sel:DWORD dst_unused:UNUSED_PAD src0_sel:WORD_1
	v_max_f32_e32 v7, 0, v7
	v_max_f32_e32 v6, 0, v6
	v_cvt_pk_f16_f32 v6, v6, v7
	v_pk_add_f32 v[8:9], v[72:73], v[8:9]
	s_and_b64 s[2:3], s[2:3], vcc
	v_max_f32_e32 v7, 0, v9
	v_max_f32_e32 v8, 0, v8
	v_subrev_u32_e32 v12, s4, v11
	v_cvt_pk_f16_f32 v7, v8, v7
	v_cndmask_b32_e64 v8, v100, 0, s[2:3]
	v_lshl_add_u32 v13, v12, 1, v8
	v_cvt_f32_f16_e32 v8, v39
	v_cvt_f32_f16_sdwa v9, v39 dst_sel:DWORD dst_unused:UNUSED_PAD src0_sel:WORD_1
	buffer_store_dwordx2 v[6:7], v13, s[8:11], 0 offen
	v_cmp_gt_i32_e64 s[2:3], s33, v37
	s_lshl_b32 s5, s30, 6
	v_pk_add_f32 v[6:7], v[64:65], v[8:9]
	v_cvt_f32_f16_e32 v8, v38
	v_cvt_f32_f16_sdwa v9, v38 dst_sel:DWORD dst_unused:UNUSED_PAD src0_sel:WORD_1
	v_max_f32_e32 v7, 0, v7
	v_max_f32_e32 v6, 0, v6
	v_cvt_pk_f16_f32 v6, v6, v7
	v_pk_add_f32 v[8:9], v[70:71], v[8:9]
	s_and_b64 s[6:7], s[2:3], vcc
	v_max_f32_e32 v7, 0, v9
	v_max_f32_e32 v8, 0, v8
	v_cvt_pk_f16_f32 v7, v8, v7
	v_cvt_f32_f16_e32 v8, v105
	v_cvt_f32_f16_sdwa v9, v105 dst_sel:DWORD dst_unused:UNUSED_PAD src0_sel:WORD_1
	v_add_u32_e32 v12, s5, v12
	v_cndmask_b32_e64 v13, v100, 0, s[6:7]
	v_lshl_add_u32 v12, v12, 1, v13
	buffer_store_dwordx2 v[6:7], v12, s[8:11], 0 offen
	v_pk_add_f32 v[6:7], v[68:69], v[8:9]
	v_cvt_f32_f16_e32 v8, v104
	v_cvt_f32_f16_sdwa v9, v104 dst_sel:DWORD dst_unused:UNUSED_PAD src0_sel:WORD_1
	v_max_f32_e32 v7, 0, v7
	v_max_f32_e32 v6, 0, v6
	v_cvt_pk_f16_f32 v6, v6, v7
	v_pk_add_f32 v[8:9], v[66:67], v[8:9]
	s_and_b64 s[2:3], s[2:3], s[0:1]
	v_max_f32_e32 v7, 0, v9
	v_max_f32_e32 v8, 0, v8
	v_cvt_pk_f16_f32 v7, v8, v7
	v_cvt_f32_f16_e32 v8, v36
	v_cvt_f32_f16_sdwa v9, v36 dst_sel:DWORD dst_unused:UNUSED_PAD src0_sel:WORD_1
	v_add_u32_e32 v11, s5, v11
	v_cndmask_b32_e64 v12, v100, 0, s[2:3]
	v_lshl_add_u32 v11, v11, 1, v12
	buffer_store_dwordx2 v[6:7], v11, s[8:11], 0 offen
	v_pk_add_f32 v[6:7], v[62:63], v[8:9]
	v_cvt_f32_f16_e32 v8, v35
	v_cvt_f32_f16_sdwa v9, v35 dst_sel:DWORD dst_unused:UNUSED_PAD src0_sel:WORD_1
	v_max_f32_e32 v7, 0, v7
	v_max_f32_e32 v6, 0, v6
	v_cvt_pk_f16_f32 v6, v6, v7
	v_pk_add_f32 v[8:9], v[60:61], v[8:9]
	v_cmp_ge_i32_e64 s[2:3], s33, v37
	v_max_f32_e32 v7, 0, v9
	v_max_f32_e32 v8, 0, v8
	v_cvt_pk_f16_f32 v7, v8, v7
	v_cvt_f32_f16_e32 v8, v34
	v_cvt_f32_f16_sdwa v9, v34 dst_sel:DWORD dst_unused:UNUSED_PAD src0_sel:WORD_1
	s_and_b64 s[2:3], s[2:3], s[0:1]
	v_add_u32_e32 v10, s5, v10
	v_cndmask_b32_e64 v11, v100, 0, s[2:3]
	v_lshl_add_u32 v11, v10, 1, v11
	buffer_store_dwordx2 v[6:7], v11, s[8:11], 0 offen
	v_pk_add_f32 v[6:7], v[58:59], v[8:9]
	v_cvt_f32_f16_e32 v8, v33
	v_cvt_f32_f16_sdwa v9, v33 dst_sel:DWORD dst_unused:UNUSED_PAD src0_sel:WORD_1
	v_max_f32_e32 v7, 0, v7
	v_max_f32_e32 v6, 0, v6
	v_cvt_pk_f16_f32 v6, v6, v7
	v_pk_add_f32 v[8:9], v[56:57], v[8:9]
	v_cmp_gt_i32_e64 s[2:3], s33, v32
	v_max_f32_e32 v7, 0, v9
	v_max_f32_e32 v8, 0, v8
	v_cvt_pk_f16_f32 v7, v8, v7
	v_cvt_f32_f16_e32 v8, v24
	v_cvt_f32_f16_sdwa v9, v24 dst_sel:DWORD dst_unused:UNUSED_PAD src0_sel:WORD_1
	s_and_b64 s[2:3], s[2:3], vcc
	v_subrev_u32_e32 v10, s4, v10
	v_cndmask_b32_e64 v11, v100, 0, s[2:3]
	v_lshl_add_u32 v11, v10, 1, v11
	buffer_store_dwordx2 v[6:7], v11, s[8:11], 0 offen
	v_pk_add_f32 v[6:7], v[54:55], v[8:9]
	v_cvt_f32_f16_e32 v8, v25
	v_cvt_f32_f16_sdwa v9, v25 dst_sel:DWORD dst_unused:UNUSED_PAD src0_sel:WORD_1
	v_max_f32_e32 v7, 0, v7
	v_max_f32_e32 v6, 0, v6
	v_cvt_pk_f16_f32 v6, v6, v7
	v_pk_add_f32 v[8:9], v[52:53], v[8:9]
	v_cmp_ge_i32_e64 s[2:3], s33, v32
	v_max_f32_e32 v7, 0, v9
	v_max_f32_e32 v8, 0, v8
	v_cvt_pk_f16_f32 v7, v8, v7
	v_cvt_f32_f16_e32 v8, v31
	v_cvt_f32_f16_sdwa v9, v31 dst_sel:DWORD dst_unused:UNUSED_PAD src0_sel:WORD_1
	s_and_b64 s[2:3], s[2:3], vcc
	v_subrev_u32_e32 v10, s30, v10
	v_cndmask_b32_e64 v11, v100, 0, s[2:3]
	v_lshl_add_u32 v11, v10, 1, v11
	buffer_store_dwordx2 v[6:7], v11, s[8:11], 0 offen
	v_pk_add_f32 v[6:7], v[50:51], v[8:9]
	v_cvt_f32_f16_e32 v8, v30
	v_cvt_f32_f16_sdwa v9, v30 dst_sel:DWORD dst_unused:UNUSED_PAD src0_sel:WORD_1
	v_max_f32_e32 v7, 0, v7
	v_max_f32_e32 v6, 0, v6
	v_cvt_pk_f16_f32 v6, v6, v7
	v_pk_add_f32 v[8:9], v[48:49], v[8:9]
	v_cmp_gt_i32_e64 s[2:3], s33, v3
	v_max_f32_e32 v7, 0, v9
	v_max_f32_e32 v8, 0, v8
	v_cvt_pk_f16_f32 v7, v8, v7
	v_cvt_f32_f16_e32 v8, v5
	v_cvt_f32_f16_sdwa v9, v5 dst_sel:DWORD dst_unused:UNUSED_PAD src0_sel:WORD_1
	s_and_b64 s[2:3], s[2:3], s[0:1]
	v_add_u32_e32 v10, s4, v10
	v_cndmask_b32_e64 v11, v100, 0, s[2:3]
	v_lshl_add_u32 v5, v10, 1, v11
	buffer_store_dwordx2 v[6:7], v5, s[8:11], 0 offen
	v_pk_add_f32 v[6:7], v[46:47], v[8:9]
	v_cvt_f32_f16_e32 v8, v4
	v_cvt_f32_f16_sdwa v9, v4 dst_sel:DWORD dst_unused:UNUSED_PAD src0_sel:WORD_1
	v_cmp_ge_i32_e64 s[2:3], s33, v3
	v_max_f32_e32 v4, 0, v7
	v_max_f32_e32 v5, 0, v6
	v_pk_add_f32 v[6:7], v[44:45], v[8:9]
	s_and_b64 s[0:1], s[2:3], s[0:1]
	v_subrev_u32_e32 v10, s30, v10
	v_cvt_pk_f16_f32 v4, v5, v4
	v_max_f32_e32 v5, 0, v7
	v_max_f32_e32 v6, 0, v6
	v_cndmask_b32_e64 v3, v100, 0, s[0:1]
	v_cvt_pk_f16_f32 v5, v6, v5
	v_cvt_f32_f16_e32 v6, v2
	v_cvt_f32_f16_sdwa v7, v2 dst_sel:DWORD dst_unused:UNUSED_PAD src0_sel:WORD_1
	v_lshl_add_u32 v2, v10, 1, v3
	buffer_store_dwordx2 v[4:5], v2, s[8:11], 0 offen
	v_cvt_f32_f16_e32 v4, v1
	v_cvt_f32_f16_sdwa v5, v1 dst_sel:DWORD dst_unused:UNUSED_PAD src0_sel:WORD_1
	v_pk_add_f32 v[2:3], v[42:43], v[6:7]
	v_cmp_gt_i32_e64 s[0:1], s33, v0
	v_max_f32_e32 v1, 0, v3
	v_max_f32_e32 v2, 0, v2
	v_pk_add_f32 v[4:5], v[40:41], v[4:5]
	s_and_b64 s[0:1], s[0:1], vcc
	v_subrev_u32_e32 v8, s4, v10
	v_cvt_pk_f16_f32 v2, v2, v1
	v_max_f32_e32 v1, 0, v5
	v_max_f32_e32 v3, 0, v4
	v_cndmask_b32_e64 v0, v100, 0, s[0:1]
	v_cvt_pk_f16_f32 v3, v3, v1
	v_lshl_add_u32 v0, v8, 1, v0
	buffer_store_dwordx2 v[2:3], v0, s[8:11], 0 offen
	s_endpgm
	.section	.rodata,"a",@progbits
	.p2align	6, 0x0
	.amdhsa_kernel _ZN2ck16tensor_operation6device12_GLOBAL__N_137kernel_grouped_conv_fwd_dl_multiple_dINS_32GridwiseGemmDlMultipleD_km_kn_mnILi256EDF16_fNS_5TupleIJDF16_EEEDF16_NS0_12element_wise11PassThroughES8_NS7_7AddReluELNS_25InMemoryDataOperationEnumE0ENS_16TensorDescriptorINS5_IJNS_5EmbedINS5_IJiiiiiEEESD_Lb0EEENS_11PassThroughIiEENS_3PadIiiiLb0EEESI_SI_SG_SG_NSC_INS5_IJiiEEESJ_Lb0EEESK_SK_SG_NS_23Merge_v2_magic_divisionINS5_IJiiiiEEEEESN_NS_8RightPadIiiLb0EEESP_NS_7UnMergeISJ_Lb0EEESG_EEENS5_IJNS_8SequenceIJLi0EEEENST_IJLi1EEEENST_IJLi2EEEENST_IJLi3EEEENST_IJLi4EEEENST_IJLi5EEEENST_IJLi6EEEENST_IJLi7EEEENST_IJLi8EEEENST_IJLi9EEEENST_IJLi10EEEENST_IJLi11ELi13ELi15ELi17EEEENST_IJLi12ELi14ELi16ELi18EEEENST_IJLi19EEEENST_IJLi20EEEENST_IJLi22EEEENST_IJLi21EEEEEEENS5_IJNST_IJLi1ELi2ELi3ELi4ELi5EEEES10_S11_S12_S13_S14_NST_IJLi11EEEENST_IJLi12ELi13EEEENST_IJLi14ELi15EEEENST_IJLi16ELi17EEEENST_IJLi18EEEES17_S18_S1A_S19_NST_IJLi23ELi24EEEENST_IJLi25EEEEEEENST_IJLi23ELi25ELi24EEEElEENSB_INS5_IJSR_SP_SP_SR_SG_EEENS5_IJSU_SV_SW_SY_SX_EEENS5_IJNST_IJLi1ELi2EEEESX_SY_NST_IJLi5ELi6EEEES11_EEENST_IJLi5ELi7ELi6EEEElEENSB_INS5_IJSK_SP_SP_EEENS5_IJSU_SV_SW_EEENS5_IJS1P_SX_SY_EEENST_IJLi3ELi4EEEElEELi128ELi128ELi16ELi2ELi4ELi4ELi1ENST_IJLi8ELi2EEEES1Z_NST_IJLi8ELi1ELi1ELi2EEEENST_IJLi2ELi1ELi128ELi1EEEENST_IJLi1ELi2ELi0ELi3EEEES22_NST_IJLi4ELi1ELi1ELi2EEEES22_NST_IJLi1ELi1ELi1ELi2EEEES20_S21_S22_S22_S23_S22_S24_NST_IJLi0ELi1ELi2ELi3ELi4ELi5EEEELi5ELi4EEEDF16_NS5_IJPKDF16_EEEDF16_S8_S8_S9_NSB_INS5_IJSE_SG_SI_SI_SI_SG_SG_SK_SK_SK_SG_SN_SN_SP_SP_SR_SG_SG_NSQ_INS5_IJiNS_17integral_constantIiLi128EEEEEELb0EEENSF_INS2A_IiLi2EEEEEEEENS5_IJSU_SV_SW_SX_SY_SZ_S10_S11_S12_S13_S14_S15_S16_S17_S18_S19_S1A_NST_IJLi23EEEES1J_NST_IJLi24EEEEEEENS5_IJS1C_S10_S11_S12_S13_S14_S1D_S1E_S1F_S1G_S1H_S17_S18_S1A_S19_S1I_S1J_NST_IJLi26EEEENST_IJLi27ELi28EEEENST_IJLi29EEEEEEENST_IJLi26ELi27ELi28ELi29EEEElEENSB_INS5_IJSR_SP_SP_SR_SG_SG_S2D_S2F_EEENS5_IJSU_SV_SW_SY_SX_SZ_S11_S10_EEENS5_IJS1P_SX_SY_S1Q_S11_S12_NST_IJLi9ELi10EEEES1D_EEENST_IJLi8ELi9ELi10ELi11EEEElEENS5_IJNSB_INS5_IJSK_SP_SP_NSQ_INS5_IJiS2E_NS2A_IiLi64EEEEEELb0EEES2Y_EEENS5_IJSU_SV_SW_SX_SY_EEENS5_IJS1P_SX_SY_NST_IJLi5ELi6ELi7EEEENST_IJLi8ELi9ELi10EEEEEEENST_IJLi5ELi6ELi7ELi8ELi9ELi10EEEElEEEEES35_NS_31BlockToCTileMap_M00_N00_M01_N01ILi128ELi128ES1Y_Lb0EEENS1_30ComputePtrOffsetOfStridedBatchILi1ELi1ELi1EvEELb1ELb1EEEvPKT0_S3D_T1_PT2_T3_T4_T5_iT6_T7_T8_T9_T10_T11_
		.amdhsa_group_segment_fixed_size 32768
		.amdhsa_private_segment_fixed_size 0
		.amdhsa_kernarg_size 1024
		.amdhsa_user_sgpr_count 2
		.amdhsa_user_sgpr_dispatch_ptr 0
		.amdhsa_user_sgpr_queue_ptr 0
		.amdhsa_user_sgpr_kernarg_segment_ptr 1
		.amdhsa_user_sgpr_dispatch_id 0
		.amdhsa_user_sgpr_kernarg_preload_length 0
		.amdhsa_user_sgpr_kernarg_preload_offset 0
		.amdhsa_user_sgpr_private_segment_size 0
		.amdhsa_uses_dynamic_stack 0
		.amdhsa_enable_private_segment 0
		.amdhsa_system_sgpr_workgroup_id_x 1
		.amdhsa_system_sgpr_workgroup_id_y 0
		.amdhsa_system_sgpr_workgroup_id_z 0
		.amdhsa_system_sgpr_workgroup_info 0
		.amdhsa_system_vgpr_workitem_id 0
		.amdhsa_next_free_vgpr 183
		.amdhsa_next_free_sgpr 100
		.amdhsa_accum_offset 184
		.amdhsa_reserve_vcc 1
		.amdhsa_float_round_mode_32 0
		.amdhsa_float_round_mode_16_64 0
		.amdhsa_float_denorm_mode_32 3
		.amdhsa_float_denorm_mode_16_64 3
		.amdhsa_dx10_clamp 1
		.amdhsa_ieee_mode 1
		.amdhsa_fp16_overflow 0
		.amdhsa_tg_split 0
		.amdhsa_exception_fp_ieee_invalid_op 0
		.amdhsa_exception_fp_denorm_src 0
		.amdhsa_exception_fp_ieee_div_zero 0
		.amdhsa_exception_fp_ieee_overflow 0
		.amdhsa_exception_fp_ieee_underflow 0
		.amdhsa_exception_fp_ieee_inexact 0
		.amdhsa_exception_int_div_zero 0
	.end_amdhsa_kernel
	.section	.text._ZN2ck16tensor_operation6device12_GLOBAL__N_137kernel_grouped_conv_fwd_dl_multiple_dINS_32GridwiseGemmDlMultipleD_km_kn_mnILi256EDF16_fNS_5TupleIJDF16_EEEDF16_NS0_12element_wise11PassThroughES8_NS7_7AddReluELNS_25InMemoryDataOperationEnumE0ENS_16TensorDescriptorINS5_IJNS_5EmbedINS5_IJiiiiiEEESD_Lb0EEENS_11PassThroughIiEENS_3PadIiiiLb0EEESI_SI_SG_SG_NSC_INS5_IJiiEEESJ_Lb0EEESK_SK_SG_NS_23Merge_v2_magic_divisionINS5_IJiiiiEEEEESN_NS_8RightPadIiiLb0EEESP_NS_7UnMergeISJ_Lb0EEESG_EEENS5_IJNS_8SequenceIJLi0EEEENST_IJLi1EEEENST_IJLi2EEEENST_IJLi3EEEENST_IJLi4EEEENST_IJLi5EEEENST_IJLi6EEEENST_IJLi7EEEENST_IJLi8EEEENST_IJLi9EEEENST_IJLi10EEEENST_IJLi11ELi13ELi15ELi17EEEENST_IJLi12ELi14ELi16ELi18EEEENST_IJLi19EEEENST_IJLi20EEEENST_IJLi22EEEENST_IJLi21EEEEEEENS5_IJNST_IJLi1ELi2ELi3ELi4ELi5EEEES10_S11_S12_S13_S14_NST_IJLi11EEEENST_IJLi12ELi13EEEENST_IJLi14ELi15EEEENST_IJLi16ELi17EEEENST_IJLi18EEEES17_S18_S1A_S19_NST_IJLi23ELi24EEEENST_IJLi25EEEEEEENST_IJLi23ELi25ELi24EEEElEENSB_INS5_IJSR_SP_SP_SR_SG_EEENS5_IJSU_SV_SW_SY_SX_EEENS5_IJNST_IJLi1ELi2EEEESX_SY_NST_IJLi5ELi6EEEES11_EEENST_IJLi5ELi7ELi6EEEElEENSB_INS5_IJSK_SP_SP_EEENS5_IJSU_SV_SW_EEENS5_IJS1P_SX_SY_EEENST_IJLi3ELi4EEEElEELi128ELi128ELi16ELi2ELi4ELi4ELi1ENST_IJLi8ELi2EEEES1Z_NST_IJLi8ELi1ELi1ELi2EEEENST_IJLi2ELi1ELi128ELi1EEEENST_IJLi1ELi2ELi0ELi3EEEES22_NST_IJLi4ELi1ELi1ELi2EEEES22_NST_IJLi1ELi1ELi1ELi2EEEES20_S21_S22_S22_S23_S22_S24_NST_IJLi0ELi1ELi2ELi3ELi4ELi5EEEELi5ELi4EEEDF16_NS5_IJPKDF16_EEEDF16_S8_S8_S9_NSB_INS5_IJSE_SG_SI_SI_SI_SG_SG_SK_SK_SK_SG_SN_SN_SP_SP_SR_SG_SG_NSQ_INS5_IJiNS_17integral_constantIiLi128EEEEEELb0EEENSF_INS2A_IiLi2EEEEEEEENS5_IJSU_SV_SW_SX_SY_SZ_S10_S11_S12_S13_S14_S15_S16_S17_S18_S19_S1A_NST_IJLi23EEEES1J_NST_IJLi24EEEEEEENS5_IJS1C_S10_S11_S12_S13_S14_S1D_S1E_S1F_S1G_S1H_S17_S18_S1A_S19_S1I_S1J_NST_IJLi26EEEENST_IJLi27ELi28EEEENST_IJLi29EEEEEEENST_IJLi26ELi27ELi28ELi29EEEElEENSB_INS5_IJSR_SP_SP_SR_SG_SG_S2D_S2F_EEENS5_IJSU_SV_SW_SY_SX_SZ_S11_S10_EEENS5_IJS1P_SX_SY_S1Q_S11_S12_NST_IJLi9ELi10EEEES1D_EEENST_IJLi8ELi9ELi10ELi11EEEElEENS5_IJNSB_INS5_IJSK_SP_SP_NSQ_INS5_IJiS2E_NS2A_IiLi64EEEEEELb0EEES2Y_EEENS5_IJSU_SV_SW_SX_SY_EEENS5_IJS1P_SX_SY_NST_IJLi5ELi6ELi7EEEENST_IJLi8ELi9ELi10EEEEEEENST_IJLi5ELi6ELi7ELi8ELi9ELi10EEEElEEEEES35_NS_31BlockToCTileMap_M00_N00_M01_N01ILi128ELi128ES1Y_Lb0EEENS1_30ComputePtrOffsetOfStridedBatchILi1ELi1ELi1EvEELb1ELb1EEEvPKT0_S3D_T1_PT2_T3_T4_T5_iT6_T7_T8_T9_T10_T11_,"axG",@progbits,_ZN2ck16tensor_operation6device12_GLOBAL__N_137kernel_grouped_conv_fwd_dl_multiple_dINS_32GridwiseGemmDlMultipleD_km_kn_mnILi256EDF16_fNS_5TupleIJDF16_EEEDF16_NS0_12element_wise11PassThroughES8_NS7_7AddReluELNS_25InMemoryDataOperationEnumE0ENS_16TensorDescriptorINS5_IJNS_5EmbedINS5_IJiiiiiEEESD_Lb0EEENS_11PassThroughIiEENS_3PadIiiiLb0EEESI_SI_SG_SG_NSC_INS5_IJiiEEESJ_Lb0EEESK_SK_SG_NS_23Merge_v2_magic_divisionINS5_IJiiiiEEEEESN_NS_8RightPadIiiLb0EEESP_NS_7UnMergeISJ_Lb0EEESG_EEENS5_IJNS_8SequenceIJLi0EEEENST_IJLi1EEEENST_IJLi2EEEENST_IJLi3EEEENST_IJLi4EEEENST_IJLi5EEEENST_IJLi6EEEENST_IJLi7EEEENST_IJLi8EEEENST_IJLi9EEEENST_IJLi10EEEENST_IJLi11ELi13ELi15ELi17EEEENST_IJLi12ELi14ELi16ELi18EEEENST_IJLi19EEEENST_IJLi20EEEENST_IJLi22EEEENST_IJLi21EEEEEEENS5_IJNST_IJLi1ELi2ELi3ELi4ELi5EEEES10_S11_S12_S13_S14_NST_IJLi11EEEENST_IJLi12ELi13EEEENST_IJLi14ELi15EEEENST_IJLi16ELi17EEEENST_IJLi18EEEES17_S18_S1A_S19_NST_IJLi23ELi24EEEENST_IJLi25EEEEEEENST_IJLi23ELi25ELi24EEEElEENSB_INS5_IJSR_SP_SP_SR_SG_EEENS5_IJSU_SV_SW_SY_SX_EEENS5_IJNST_IJLi1ELi2EEEESX_SY_NST_IJLi5ELi6EEEES11_EEENST_IJLi5ELi7ELi6EEEElEENSB_INS5_IJSK_SP_SP_EEENS5_IJSU_SV_SW_EEENS5_IJS1P_SX_SY_EEENST_IJLi3ELi4EEEElEELi128ELi128ELi16ELi2ELi4ELi4ELi1ENST_IJLi8ELi2EEEES1Z_NST_IJLi8ELi1ELi1ELi2EEEENST_IJLi2ELi1ELi128ELi1EEEENST_IJLi1ELi2ELi0ELi3EEEES22_NST_IJLi4ELi1ELi1ELi2EEEES22_NST_IJLi1ELi1ELi1ELi2EEEES20_S21_S22_S22_S23_S22_S24_NST_IJLi0ELi1ELi2ELi3ELi4ELi5EEEELi5ELi4EEEDF16_NS5_IJPKDF16_EEEDF16_S8_S8_S9_NSB_INS5_IJSE_SG_SI_SI_SI_SG_SG_SK_SK_SK_SG_SN_SN_SP_SP_SR_SG_SG_NSQ_INS5_IJiNS_17integral_constantIiLi128EEEEEELb0EEENSF_INS2A_IiLi2EEEEEEEENS5_IJSU_SV_SW_SX_SY_SZ_S10_S11_S12_S13_S14_S15_S16_S17_S18_S19_S1A_NST_IJLi23EEEES1J_NST_IJLi24EEEEEEENS5_IJS1C_S10_S11_S12_S13_S14_S1D_S1E_S1F_S1G_S1H_S17_S18_S1A_S19_S1I_S1J_NST_IJLi26EEEENST_IJLi27ELi28EEEENST_IJLi29EEEEEEENST_IJLi26ELi27ELi28ELi29EEEElEENSB_INS5_IJSR_SP_SP_SR_SG_SG_S2D_S2F_EEENS5_IJSU_SV_SW_SY_SX_SZ_S11_S10_EEENS5_IJS1P_SX_SY_S1Q_S11_S12_NST_IJLi9ELi10EEEES1D_EEENST_IJLi8ELi9ELi10ELi11EEEElEENS5_IJNSB_INS5_IJSK_SP_SP_NSQ_INS5_IJiS2E_NS2A_IiLi64EEEEEELb0EEES2Y_EEENS5_IJSU_SV_SW_SX_SY_EEENS5_IJS1P_SX_SY_NST_IJLi5ELi6ELi7EEEENST_IJLi8ELi9ELi10EEEEEEENST_IJLi5ELi6ELi7ELi8ELi9ELi10EEEElEEEEES35_NS_31BlockToCTileMap_M00_N00_M01_N01ILi128ELi128ES1Y_Lb0EEENS1_30ComputePtrOffsetOfStridedBatchILi1ELi1ELi1EvEELb1ELb1EEEvPKT0_S3D_T1_PT2_T3_T4_T5_iT6_T7_T8_T9_T10_T11_,comdat
.Lfunc_end9:
	.size	_ZN2ck16tensor_operation6device12_GLOBAL__N_137kernel_grouped_conv_fwd_dl_multiple_dINS_32GridwiseGemmDlMultipleD_km_kn_mnILi256EDF16_fNS_5TupleIJDF16_EEEDF16_NS0_12element_wise11PassThroughES8_NS7_7AddReluELNS_25InMemoryDataOperationEnumE0ENS_16TensorDescriptorINS5_IJNS_5EmbedINS5_IJiiiiiEEESD_Lb0EEENS_11PassThroughIiEENS_3PadIiiiLb0EEESI_SI_SG_SG_NSC_INS5_IJiiEEESJ_Lb0EEESK_SK_SG_NS_23Merge_v2_magic_divisionINS5_IJiiiiEEEEESN_NS_8RightPadIiiLb0EEESP_NS_7UnMergeISJ_Lb0EEESG_EEENS5_IJNS_8SequenceIJLi0EEEENST_IJLi1EEEENST_IJLi2EEEENST_IJLi3EEEENST_IJLi4EEEENST_IJLi5EEEENST_IJLi6EEEENST_IJLi7EEEENST_IJLi8EEEENST_IJLi9EEEENST_IJLi10EEEENST_IJLi11ELi13ELi15ELi17EEEENST_IJLi12ELi14ELi16ELi18EEEENST_IJLi19EEEENST_IJLi20EEEENST_IJLi22EEEENST_IJLi21EEEEEEENS5_IJNST_IJLi1ELi2ELi3ELi4ELi5EEEES10_S11_S12_S13_S14_NST_IJLi11EEEENST_IJLi12ELi13EEEENST_IJLi14ELi15EEEENST_IJLi16ELi17EEEENST_IJLi18EEEES17_S18_S1A_S19_NST_IJLi23ELi24EEEENST_IJLi25EEEEEEENST_IJLi23ELi25ELi24EEEElEENSB_INS5_IJSR_SP_SP_SR_SG_EEENS5_IJSU_SV_SW_SY_SX_EEENS5_IJNST_IJLi1ELi2EEEESX_SY_NST_IJLi5ELi6EEEES11_EEENST_IJLi5ELi7ELi6EEEElEENSB_INS5_IJSK_SP_SP_EEENS5_IJSU_SV_SW_EEENS5_IJS1P_SX_SY_EEENST_IJLi3ELi4EEEElEELi128ELi128ELi16ELi2ELi4ELi4ELi1ENST_IJLi8ELi2EEEES1Z_NST_IJLi8ELi1ELi1ELi2EEEENST_IJLi2ELi1ELi128ELi1EEEENST_IJLi1ELi2ELi0ELi3EEEES22_NST_IJLi4ELi1ELi1ELi2EEEES22_NST_IJLi1ELi1ELi1ELi2EEEES20_S21_S22_S22_S23_S22_S24_NST_IJLi0ELi1ELi2ELi3ELi4ELi5EEEELi5ELi4EEEDF16_NS5_IJPKDF16_EEEDF16_S8_S8_S9_NSB_INS5_IJSE_SG_SI_SI_SI_SG_SG_SK_SK_SK_SG_SN_SN_SP_SP_SR_SG_SG_NSQ_INS5_IJiNS_17integral_constantIiLi128EEEEEELb0EEENSF_INS2A_IiLi2EEEEEEEENS5_IJSU_SV_SW_SX_SY_SZ_S10_S11_S12_S13_S14_S15_S16_S17_S18_S19_S1A_NST_IJLi23EEEES1J_NST_IJLi24EEEEEEENS5_IJS1C_S10_S11_S12_S13_S14_S1D_S1E_S1F_S1G_S1H_S17_S18_S1A_S19_S1I_S1J_NST_IJLi26EEEENST_IJLi27ELi28EEEENST_IJLi29EEEEEEENST_IJLi26ELi27ELi28ELi29EEEElEENSB_INS5_IJSR_SP_SP_SR_SG_SG_S2D_S2F_EEENS5_IJSU_SV_SW_SY_SX_SZ_S11_S10_EEENS5_IJS1P_SX_SY_S1Q_S11_S12_NST_IJLi9ELi10EEEES1D_EEENST_IJLi8ELi9ELi10ELi11EEEElEENS5_IJNSB_INS5_IJSK_SP_SP_NSQ_INS5_IJiS2E_NS2A_IiLi64EEEEEELb0EEES2Y_EEENS5_IJSU_SV_SW_SX_SY_EEENS5_IJS1P_SX_SY_NST_IJLi5ELi6ELi7EEEENST_IJLi8ELi9ELi10EEEEEEENST_IJLi5ELi6ELi7ELi8ELi9ELi10EEEElEEEEES35_NS_31BlockToCTileMap_M00_N00_M01_N01ILi128ELi128ES1Y_Lb0EEENS1_30ComputePtrOffsetOfStridedBatchILi1ELi1ELi1EvEELb1ELb1EEEvPKT0_S3D_T1_PT2_T3_T4_T5_iT6_T7_T8_T9_T10_T11_, .Lfunc_end9-_ZN2ck16tensor_operation6device12_GLOBAL__N_137kernel_grouped_conv_fwd_dl_multiple_dINS_32GridwiseGemmDlMultipleD_km_kn_mnILi256EDF16_fNS_5TupleIJDF16_EEEDF16_NS0_12element_wise11PassThroughES8_NS7_7AddReluELNS_25InMemoryDataOperationEnumE0ENS_16TensorDescriptorINS5_IJNS_5EmbedINS5_IJiiiiiEEESD_Lb0EEENS_11PassThroughIiEENS_3PadIiiiLb0EEESI_SI_SG_SG_NSC_INS5_IJiiEEESJ_Lb0EEESK_SK_SG_NS_23Merge_v2_magic_divisionINS5_IJiiiiEEEEESN_NS_8RightPadIiiLb0EEESP_NS_7UnMergeISJ_Lb0EEESG_EEENS5_IJNS_8SequenceIJLi0EEEENST_IJLi1EEEENST_IJLi2EEEENST_IJLi3EEEENST_IJLi4EEEENST_IJLi5EEEENST_IJLi6EEEENST_IJLi7EEEENST_IJLi8EEEENST_IJLi9EEEENST_IJLi10EEEENST_IJLi11ELi13ELi15ELi17EEEENST_IJLi12ELi14ELi16ELi18EEEENST_IJLi19EEEENST_IJLi20EEEENST_IJLi22EEEENST_IJLi21EEEEEEENS5_IJNST_IJLi1ELi2ELi3ELi4ELi5EEEES10_S11_S12_S13_S14_NST_IJLi11EEEENST_IJLi12ELi13EEEENST_IJLi14ELi15EEEENST_IJLi16ELi17EEEENST_IJLi18EEEES17_S18_S1A_S19_NST_IJLi23ELi24EEEENST_IJLi25EEEEEEENST_IJLi23ELi25ELi24EEEElEENSB_INS5_IJSR_SP_SP_SR_SG_EEENS5_IJSU_SV_SW_SY_SX_EEENS5_IJNST_IJLi1ELi2EEEESX_SY_NST_IJLi5ELi6EEEES11_EEENST_IJLi5ELi7ELi6EEEElEENSB_INS5_IJSK_SP_SP_EEENS5_IJSU_SV_SW_EEENS5_IJS1P_SX_SY_EEENST_IJLi3ELi4EEEElEELi128ELi128ELi16ELi2ELi4ELi4ELi1ENST_IJLi8ELi2EEEES1Z_NST_IJLi8ELi1ELi1ELi2EEEENST_IJLi2ELi1ELi128ELi1EEEENST_IJLi1ELi2ELi0ELi3EEEES22_NST_IJLi4ELi1ELi1ELi2EEEES22_NST_IJLi1ELi1ELi1ELi2EEEES20_S21_S22_S22_S23_S22_S24_NST_IJLi0ELi1ELi2ELi3ELi4ELi5EEEELi5ELi4EEEDF16_NS5_IJPKDF16_EEEDF16_S8_S8_S9_NSB_INS5_IJSE_SG_SI_SI_SI_SG_SG_SK_SK_SK_SG_SN_SN_SP_SP_SR_SG_SG_NSQ_INS5_IJiNS_17integral_constantIiLi128EEEEEELb0EEENSF_INS2A_IiLi2EEEEEEEENS5_IJSU_SV_SW_SX_SY_SZ_S10_S11_S12_S13_S14_S15_S16_S17_S18_S19_S1A_NST_IJLi23EEEES1J_NST_IJLi24EEEEEEENS5_IJS1C_S10_S11_S12_S13_S14_S1D_S1E_S1F_S1G_S1H_S17_S18_S1A_S19_S1I_S1J_NST_IJLi26EEEENST_IJLi27ELi28EEEENST_IJLi29EEEEEEENST_IJLi26ELi27ELi28ELi29EEEElEENSB_INS5_IJSR_SP_SP_SR_SG_SG_S2D_S2F_EEENS5_IJSU_SV_SW_SY_SX_SZ_S11_S10_EEENS5_IJS1P_SX_SY_S1Q_S11_S12_NST_IJLi9ELi10EEEES1D_EEENST_IJLi8ELi9ELi10ELi11EEEElEENS5_IJNSB_INS5_IJSK_SP_SP_NSQ_INS5_IJiS2E_NS2A_IiLi64EEEEEELb0EEES2Y_EEENS5_IJSU_SV_SW_SX_SY_EEENS5_IJS1P_SX_SY_NST_IJLi5ELi6ELi7EEEENST_IJLi8ELi9ELi10EEEEEEENST_IJLi5ELi6ELi7ELi8ELi9ELi10EEEElEEEEES35_NS_31BlockToCTileMap_M00_N00_M01_N01ILi128ELi128ES1Y_Lb0EEENS1_30ComputePtrOffsetOfStridedBatchILi1ELi1ELi1EvEELb1ELb1EEEvPKT0_S3D_T1_PT2_T3_T4_T5_iT6_T7_T8_T9_T10_T11_
                                        ; -- End function
	.set _ZN2ck16tensor_operation6device12_GLOBAL__N_137kernel_grouped_conv_fwd_dl_multiple_dINS_32GridwiseGemmDlMultipleD_km_kn_mnILi256EDF16_fNS_5TupleIJDF16_EEEDF16_NS0_12element_wise11PassThroughES8_NS7_7AddReluELNS_25InMemoryDataOperationEnumE0ENS_16TensorDescriptorINS5_IJNS_5EmbedINS5_IJiiiiiEEESD_Lb0EEENS_11PassThroughIiEENS_3PadIiiiLb0EEESI_SI_SG_SG_NSC_INS5_IJiiEEESJ_Lb0EEESK_SK_SG_NS_23Merge_v2_magic_divisionINS5_IJiiiiEEEEESN_NS_8RightPadIiiLb0EEESP_NS_7UnMergeISJ_Lb0EEESG_EEENS5_IJNS_8SequenceIJLi0EEEENST_IJLi1EEEENST_IJLi2EEEENST_IJLi3EEEENST_IJLi4EEEENST_IJLi5EEEENST_IJLi6EEEENST_IJLi7EEEENST_IJLi8EEEENST_IJLi9EEEENST_IJLi10EEEENST_IJLi11ELi13ELi15ELi17EEEENST_IJLi12ELi14ELi16ELi18EEEENST_IJLi19EEEENST_IJLi20EEEENST_IJLi22EEEENST_IJLi21EEEEEEENS5_IJNST_IJLi1ELi2ELi3ELi4ELi5EEEES10_S11_S12_S13_S14_NST_IJLi11EEEENST_IJLi12ELi13EEEENST_IJLi14ELi15EEEENST_IJLi16ELi17EEEENST_IJLi18EEEES17_S18_S1A_S19_NST_IJLi23ELi24EEEENST_IJLi25EEEEEEENST_IJLi23ELi25ELi24EEEElEENSB_INS5_IJSR_SP_SP_SR_SG_EEENS5_IJSU_SV_SW_SY_SX_EEENS5_IJNST_IJLi1ELi2EEEESX_SY_NST_IJLi5ELi6EEEES11_EEENST_IJLi5ELi7ELi6EEEElEENSB_INS5_IJSK_SP_SP_EEENS5_IJSU_SV_SW_EEENS5_IJS1P_SX_SY_EEENST_IJLi3ELi4EEEElEELi128ELi128ELi16ELi2ELi4ELi4ELi1ENST_IJLi8ELi2EEEES1Z_NST_IJLi8ELi1ELi1ELi2EEEENST_IJLi2ELi1ELi128ELi1EEEENST_IJLi1ELi2ELi0ELi3EEEES22_NST_IJLi4ELi1ELi1ELi2EEEES22_NST_IJLi1ELi1ELi1ELi2EEEES20_S21_S22_S22_S23_S22_S24_NST_IJLi0ELi1ELi2ELi3ELi4ELi5EEEELi5ELi4EEEDF16_NS5_IJPKDF16_EEEDF16_S8_S8_S9_NSB_INS5_IJSE_SG_SI_SI_SI_SG_SG_SK_SK_SK_SG_SN_SN_SP_SP_SR_SG_SG_NSQ_INS5_IJiNS_17integral_constantIiLi128EEEEEELb0EEENSF_INS2A_IiLi2EEEEEEEENS5_IJSU_SV_SW_SX_SY_SZ_S10_S11_S12_S13_S14_S15_S16_S17_S18_S19_S1A_NST_IJLi23EEEES1J_NST_IJLi24EEEEEEENS5_IJS1C_S10_S11_S12_S13_S14_S1D_S1E_S1F_S1G_S1H_S17_S18_S1A_S19_S1I_S1J_NST_IJLi26EEEENST_IJLi27ELi28EEEENST_IJLi29EEEEEEENST_IJLi26ELi27ELi28ELi29EEEElEENSB_INS5_IJSR_SP_SP_SR_SG_SG_S2D_S2F_EEENS5_IJSU_SV_SW_SY_SX_SZ_S11_S10_EEENS5_IJS1P_SX_SY_S1Q_S11_S12_NST_IJLi9ELi10EEEES1D_EEENST_IJLi8ELi9ELi10ELi11EEEElEENS5_IJNSB_INS5_IJSK_SP_SP_NSQ_INS5_IJiS2E_NS2A_IiLi64EEEEEELb0EEES2Y_EEENS5_IJSU_SV_SW_SX_SY_EEENS5_IJS1P_SX_SY_NST_IJLi5ELi6ELi7EEEENST_IJLi8ELi9ELi10EEEEEEENST_IJLi5ELi6ELi7ELi8ELi9ELi10EEEElEEEEES35_NS_31BlockToCTileMap_M00_N00_M01_N01ILi128ELi128ES1Y_Lb0EEENS1_30ComputePtrOffsetOfStridedBatchILi1ELi1ELi1EvEELb1ELb1EEEvPKT0_S3D_T1_PT2_T3_T4_T5_iT6_T7_T8_T9_T10_T11_.num_vgpr, 183
	.set _ZN2ck16tensor_operation6device12_GLOBAL__N_137kernel_grouped_conv_fwd_dl_multiple_dINS_32GridwiseGemmDlMultipleD_km_kn_mnILi256EDF16_fNS_5TupleIJDF16_EEEDF16_NS0_12element_wise11PassThroughES8_NS7_7AddReluELNS_25InMemoryDataOperationEnumE0ENS_16TensorDescriptorINS5_IJNS_5EmbedINS5_IJiiiiiEEESD_Lb0EEENS_11PassThroughIiEENS_3PadIiiiLb0EEESI_SI_SG_SG_NSC_INS5_IJiiEEESJ_Lb0EEESK_SK_SG_NS_23Merge_v2_magic_divisionINS5_IJiiiiEEEEESN_NS_8RightPadIiiLb0EEESP_NS_7UnMergeISJ_Lb0EEESG_EEENS5_IJNS_8SequenceIJLi0EEEENST_IJLi1EEEENST_IJLi2EEEENST_IJLi3EEEENST_IJLi4EEEENST_IJLi5EEEENST_IJLi6EEEENST_IJLi7EEEENST_IJLi8EEEENST_IJLi9EEEENST_IJLi10EEEENST_IJLi11ELi13ELi15ELi17EEEENST_IJLi12ELi14ELi16ELi18EEEENST_IJLi19EEEENST_IJLi20EEEENST_IJLi22EEEENST_IJLi21EEEEEEENS5_IJNST_IJLi1ELi2ELi3ELi4ELi5EEEES10_S11_S12_S13_S14_NST_IJLi11EEEENST_IJLi12ELi13EEEENST_IJLi14ELi15EEEENST_IJLi16ELi17EEEENST_IJLi18EEEES17_S18_S1A_S19_NST_IJLi23ELi24EEEENST_IJLi25EEEEEEENST_IJLi23ELi25ELi24EEEElEENSB_INS5_IJSR_SP_SP_SR_SG_EEENS5_IJSU_SV_SW_SY_SX_EEENS5_IJNST_IJLi1ELi2EEEESX_SY_NST_IJLi5ELi6EEEES11_EEENST_IJLi5ELi7ELi6EEEElEENSB_INS5_IJSK_SP_SP_EEENS5_IJSU_SV_SW_EEENS5_IJS1P_SX_SY_EEENST_IJLi3ELi4EEEElEELi128ELi128ELi16ELi2ELi4ELi4ELi1ENST_IJLi8ELi2EEEES1Z_NST_IJLi8ELi1ELi1ELi2EEEENST_IJLi2ELi1ELi128ELi1EEEENST_IJLi1ELi2ELi0ELi3EEEES22_NST_IJLi4ELi1ELi1ELi2EEEES22_NST_IJLi1ELi1ELi1ELi2EEEES20_S21_S22_S22_S23_S22_S24_NST_IJLi0ELi1ELi2ELi3ELi4ELi5EEEELi5ELi4EEEDF16_NS5_IJPKDF16_EEEDF16_S8_S8_S9_NSB_INS5_IJSE_SG_SI_SI_SI_SG_SG_SK_SK_SK_SG_SN_SN_SP_SP_SR_SG_SG_NSQ_INS5_IJiNS_17integral_constantIiLi128EEEEEELb0EEENSF_INS2A_IiLi2EEEEEEEENS5_IJSU_SV_SW_SX_SY_SZ_S10_S11_S12_S13_S14_S15_S16_S17_S18_S19_S1A_NST_IJLi23EEEES1J_NST_IJLi24EEEEEEENS5_IJS1C_S10_S11_S12_S13_S14_S1D_S1E_S1F_S1G_S1H_S17_S18_S1A_S19_S1I_S1J_NST_IJLi26EEEENST_IJLi27ELi28EEEENST_IJLi29EEEEEEENST_IJLi26ELi27ELi28ELi29EEEElEENSB_INS5_IJSR_SP_SP_SR_SG_SG_S2D_S2F_EEENS5_IJSU_SV_SW_SY_SX_SZ_S11_S10_EEENS5_IJS1P_SX_SY_S1Q_S11_S12_NST_IJLi9ELi10EEEES1D_EEENST_IJLi8ELi9ELi10ELi11EEEElEENS5_IJNSB_INS5_IJSK_SP_SP_NSQ_INS5_IJiS2E_NS2A_IiLi64EEEEEELb0EEES2Y_EEENS5_IJSU_SV_SW_SX_SY_EEENS5_IJS1P_SX_SY_NST_IJLi5ELi6ELi7EEEENST_IJLi8ELi9ELi10EEEEEEENST_IJLi5ELi6ELi7ELi8ELi9ELi10EEEElEEEEES35_NS_31BlockToCTileMap_M00_N00_M01_N01ILi128ELi128ES1Y_Lb0EEENS1_30ComputePtrOffsetOfStridedBatchILi1ELi1ELi1EvEELb1ELb1EEEvPKT0_S3D_T1_PT2_T3_T4_T5_iT6_T7_T8_T9_T10_T11_.num_agpr, 0
	.set _ZN2ck16tensor_operation6device12_GLOBAL__N_137kernel_grouped_conv_fwd_dl_multiple_dINS_32GridwiseGemmDlMultipleD_km_kn_mnILi256EDF16_fNS_5TupleIJDF16_EEEDF16_NS0_12element_wise11PassThroughES8_NS7_7AddReluELNS_25InMemoryDataOperationEnumE0ENS_16TensorDescriptorINS5_IJNS_5EmbedINS5_IJiiiiiEEESD_Lb0EEENS_11PassThroughIiEENS_3PadIiiiLb0EEESI_SI_SG_SG_NSC_INS5_IJiiEEESJ_Lb0EEESK_SK_SG_NS_23Merge_v2_magic_divisionINS5_IJiiiiEEEEESN_NS_8RightPadIiiLb0EEESP_NS_7UnMergeISJ_Lb0EEESG_EEENS5_IJNS_8SequenceIJLi0EEEENST_IJLi1EEEENST_IJLi2EEEENST_IJLi3EEEENST_IJLi4EEEENST_IJLi5EEEENST_IJLi6EEEENST_IJLi7EEEENST_IJLi8EEEENST_IJLi9EEEENST_IJLi10EEEENST_IJLi11ELi13ELi15ELi17EEEENST_IJLi12ELi14ELi16ELi18EEEENST_IJLi19EEEENST_IJLi20EEEENST_IJLi22EEEENST_IJLi21EEEEEEENS5_IJNST_IJLi1ELi2ELi3ELi4ELi5EEEES10_S11_S12_S13_S14_NST_IJLi11EEEENST_IJLi12ELi13EEEENST_IJLi14ELi15EEEENST_IJLi16ELi17EEEENST_IJLi18EEEES17_S18_S1A_S19_NST_IJLi23ELi24EEEENST_IJLi25EEEEEEENST_IJLi23ELi25ELi24EEEElEENSB_INS5_IJSR_SP_SP_SR_SG_EEENS5_IJSU_SV_SW_SY_SX_EEENS5_IJNST_IJLi1ELi2EEEESX_SY_NST_IJLi5ELi6EEEES11_EEENST_IJLi5ELi7ELi6EEEElEENSB_INS5_IJSK_SP_SP_EEENS5_IJSU_SV_SW_EEENS5_IJS1P_SX_SY_EEENST_IJLi3ELi4EEEElEELi128ELi128ELi16ELi2ELi4ELi4ELi1ENST_IJLi8ELi2EEEES1Z_NST_IJLi8ELi1ELi1ELi2EEEENST_IJLi2ELi1ELi128ELi1EEEENST_IJLi1ELi2ELi0ELi3EEEES22_NST_IJLi4ELi1ELi1ELi2EEEES22_NST_IJLi1ELi1ELi1ELi2EEEES20_S21_S22_S22_S23_S22_S24_NST_IJLi0ELi1ELi2ELi3ELi4ELi5EEEELi5ELi4EEEDF16_NS5_IJPKDF16_EEEDF16_S8_S8_S9_NSB_INS5_IJSE_SG_SI_SI_SI_SG_SG_SK_SK_SK_SG_SN_SN_SP_SP_SR_SG_SG_NSQ_INS5_IJiNS_17integral_constantIiLi128EEEEEELb0EEENSF_INS2A_IiLi2EEEEEEEENS5_IJSU_SV_SW_SX_SY_SZ_S10_S11_S12_S13_S14_S15_S16_S17_S18_S19_S1A_NST_IJLi23EEEES1J_NST_IJLi24EEEEEEENS5_IJS1C_S10_S11_S12_S13_S14_S1D_S1E_S1F_S1G_S1H_S17_S18_S1A_S19_S1I_S1J_NST_IJLi26EEEENST_IJLi27ELi28EEEENST_IJLi29EEEEEEENST_IJLi26ELi27ELi28ELi29EEEElEENSB_INS5_IJSR_SP_SP_SR_SG_SG_S2D_S2F_EEENS5_IJSU_SV_SW_SY_SX_SZ_S11_S10_EEENS5_IJS1P_SX_SY_S1Q_S11_S12_NST_IJLi9ELi10EEEES1D_EEENST_IJLi8ELi9ELi10ELi11EEEElEENS5_IJNSB_INS5_IJSK_SP_SP_NSQ_INS5_IJiS2E_NS2A_IiLi64EEEEEELb0EEES2Y_EEENS5_IJSU_SV_SW_SX_SY_EEENS5_IJS1P_SX_SY_NST_IJLi5ELi6ELi7EEEENST_IJLi8ELi9ELi10EEEEEEENST_IJLi5ELi6ELi7ELi8ELi9ELi10EEEElEEEEES35_NS_31BlockToCTileMap_M00_N00_M01_N01ILi128ELi128ES1Y_Lb0EEENS1_30ComputePtrOffsetOfStridedBatchILi1ELi1ELi1EvEELb1ELb1EEEvPKT0_S3D_T1_PT2_T3_T4_T5_iT6_T7_T8_T9_T10_T11_.numbered_sgpr, 100
	.set _ZN2ck16tensor_operation6device12_GLOBAL__N_137kernel_grouped_conv_fwd_dl_multiple_dINS_32GridwiseGemmDlMultipleD_km_kn_mnILi256EDF16_fNS_5TupleIJDF16_EEEDF16_NS0_12element_wise11PassThroughES8_NS7_7AddReluELNS_25InMemoryDataOperationEnumE0ENS_16TensorDescriptorINS5_IJNS_5EmbedINS5_IJiiiiiEEESD_Lb0EEENS_11PassThroughIiEENS_3PadIiiiLb0EEESI_SI_SG_SG_NSC_INS5_IJiiEEESJ_Lb0EEESK_SK_SG_NS_23Merge_v2_magic_divisionINS5_IJiiiiEEEEESN_NS_8RightPadIiiLb0EEESP_NS_7UnMergeISJ_Lb0EEESG_EEENS5_IJNS_8SequenceIJLi0EEEENST_IJLi1EEEENST_IJLi2EEEENST_IJLi3EEEENST_IJLi4EEEENST_IJLi5EEEENST_IJLi6EEEENST_IJLi7EEEENST_IJLi8EEEENST_IJLi9EEEENST_IJLi10EEEENST_IJLi11ELi13ELi15ELi17EEEENST_IJLi12ELi14ELi16ELi18EEEENST_IJLi19EEEENST_IJLi20EEEENST_IJLi22EEEENST_IJLi21EEEEEEENS5_IJNST_IJLi1ELi2ELi3ELi4ELi5EEEES10_S11_S12_S13_S14_NST_IJLi11EEEENST_IJLi12ELi13EEEENST_IJLi14ELi15EEEENST_IJLi16ELi17EEEENST_IJLi18EEEES17_S18_S1A_S19_NST_IJLi23ELi24EEEENST_IJLi25EEEEEEENST_IJLi23ELi25ELi24EEEElEENSB_INS5_IJSR_SP_SP_SR_SG_EEENS5_IJSU_SV_SW_SY_SX_EEENS5_IJNST_IJLi1ELi2EEEESX_SY_NST_IJLi5ELi6EEEES11_EEENST_IJLi5ELi7ELi6EEEElEENSB_INS5_IJSK_SP_SP_EEENS5_IJSU_SV_SW_EEENS5_IJS1P_SX_SY_EEENST_IJLi3ELi4EEEElEELi128ELi128ELi16ELi2ELi4ELi4ELi1ENST_IJLi8ELi2EEEES1Z_NST_IJLi8ELi1ELi1ELi2EEEENST_IJLi2ELi1ELi128ELi1EEEENST_IJLi1ELi2ELi0ELi3EEEES22_NST_IJLi4ELi1ELi1ELi2EEEES22_NST_IJLi1ELi1ELi1ELi2EEEES20_S21_S22_S22_S23_S22_S24_NST_IJLi0ELi1ELi2ELi3ELi4ELi5EEEELi5ELi4EEEDF16_NS5_IJPKDF16_EEEDF16_S8_S8_S9_NSB_INS5_IJSE_SG_SI_SI_SI_SG_SG_SK_SK_SK_SG_SN_SN_SP_SP_SR_SG_SG_NSQ_INS5_IJiNS_17integral_constantIiLi128EEEEEELb0EEENSF_INS2A_IiLi2EEEEEEEENS5_IJSU_SV_SW_SX_SY_SZ_S10_S11_S12_S13_S14_S15_S16_S17_S18_S19_S1A_NST_IJLi23EEEES1J_NST_IJLi24EEEEEEENS5_IJS1C_S10_S11_S12_S13_S14_S1D_S1E_S1F_S1G_S1H_S17_S18_S1A_S19_S1I_S1J_NST_IJLi26EEEENST_IJLi27ELi28EEEENST_IJLi29EEEEEEENST_IJLi26ELi27ELi28ELi29EEEElEENSB_INS5_IJSR_SP_SP_SR_SG_SG_S2D_S2F_EEENS5_IJSU_SV_SW_SY_SX_SZ_S11_S10_EEENS5_IJS1P_SX_SY_S1Q_S11_S12_NST_IJLi9ELi10EEEES1D_EEENST_IJLi8ELi9ELi10ELi11EEEElEENS5_IJNSB_INS5_IJSK_SP_SP_NSQ_INS5_IJiS2E_NS2A_IiLi64EEEEEELb0EEES2Y_EEENS5_IJSU_SV_SW_SX_SY_EEENS5_IJS1P_SX_SY_NST_IJLi5ELi6ELi7EEEENST_IJLi8ELi9ELi10EEEEEEENST_IJLi5ELi6ELi7ELi8ELi9ELi10EEEElEEEEES35_NS_31BlockToCTileMap_M00_N00_M01_N01ILi128ELi128ES1Y_Lb0EEENS1_30ComputePtrOffsetOfStridedBatchILi1ELi1ELi1EvEELb1ELb1EEEvPKT0_S3D_T1_PT2_T3_T4_T5_iT6_T7_T8_T9_T10_T11_.num_named_barrier, 0
	.set _ZN2ck16tensor_operation6device12_GLOBAL__N_137kernel_grouped_conv_fwd_dl_multiple_dINS_32GridwiseGemmDlMultipleD_km_kn_mnILi256EDF16_fNS_5TupleIJDF16_EEEDF16_NS0_12element_wise11PassThroughES8_NS7_7AddReluELNS_25InMemoryDataOperationEnumE0ENS_16TensorDescriptorINS5_IJNS_5EmbedINS5_IJiiiiiEEESD_Lb0EEENS_11PassThroughIiEENS_3PadIiiiLb0EEESI_SI_SG_SG_NSC_INS5_IJiiEEESJ_Lb0EEESK_SK_SG_NS_23Merge_v2_magic_divisionINS5_IJiiiiEEEEESN_NS_8RightPadIiiLb0EEESP_NS_7UnMergeISJ_Lb0EEESG_EEENS5_IJNS_8SequenceIJLi0EEEENST_IJLi1EEEENST_IJLi2EEEENST_IJLi3EEEENST_IJLi4EEEENST_IJLi5EEEENST_IJLi6EEEENST_IJLi7EEEENST_IJLi8EEEENST_IJLi9EEEENST_IJLi10EEEENST_IJLi11ELi13ELi15ELi17EEEENST_IJLi12ELi14ELi16ELi18EEEENST_IJLi19EEEENST_IJLi20EEEENST_IJLi22EEEENST_IJLi21EEEEEEENS5_IJNST_IJLi1ELi2ELi3ELi4ELi5EEEES10_S11_S12_S13_S14_NST_IJLi11EEEENST_IJLi12ELi13EEEENST_IJLi14ELi15EEEENST_IJLi16ELi17EEEENST_IJLi18EEEES17_S18_S1A_S19_NST_IJLi23ELi24EEEENST_IJLi25EEEEEEENST_IJLi23ELi25ELi24EEEElEENSB_INS5_IJSR_SP_SP_SR_SG_EEENS5_IJSU_SV_SW_SY_SX_EEENS5_IJNST_IJLi1ELi2EEEESX_SY_NST_IJLi5ELi6EEEES11_EEENST_IJLi5ELi7ELi6EEEElEENSB_INS5_IJSK_SP_SP_EEENS5_IJSU_SV_SW_EEENS5_IJS1P_SX_SY_EEENST_IJLi3ELi4EEEElEELi128ELi128ELi16ELi2ELi4ELi4ELi1ENST_IJLi8ELi2EEEES1Z_NST_IJLi8ELi1ELi1ELi2EEEENST_IJLi2ELi1ELi128ELi1EEEENST_IJLi1ELi2ELi0ELi3EEEES22_NST_IJLi4ELi1ELi1ELi2EEEES22_NST_IJLi1ELi1ELi1ELi2EEEES20_S21_S22_S22_S23_S22_S24_NST_IJLi0ELi1ELi2ELi3ELi4ELi5EEEELi5ELi4EEEDF16_NS5_IJPKDF16_EEEDF16_S8_S8_S9_NSB_INS5_IJSE_SG_SI_SI_SI_SG_SG_SK_SK_SK_SG_SN_SN_SP_SP_SR_SG_SG_NSQ_INS5_IJiNS_17integral_constantIiLi128EEEEEELb0EEENSF_INS2A_IiLi2EEEEEEEENS5_IJSU_SV_SW_SX_SY_SZ_S10_S11_S12_S13_S14_S15_S16_S17_S18_S19_S1A_NST_IJLi23EEEES1J_NST_IJLi24EEEEEEENS5_IJS1C_S10_S11_S12_S13_S14_S1D_S1E_S1F_S1G_S1H_S17_S18_S1A_S19_S1I_S1J_NST_IJLi26EEEENST_IJLi27ELi28EEEENST_IJLi29EEEEEEENST_IJLi26ELi27ELi28ELi29EEEElEENSB_INS5_IJSR_SP_SP_SR_SG_SG_S2D_S2F_EEENS5_IJSU_SV_SW_SY_SX_SZ_S11_S10_EEENS5_IJS1P_SX_SY_S1Q_S11_S12_NST_IJLi9ELi10EEEES1D_EEENST_IJLi8ELi9ELi10ELi11EEEElEENS5_IJNSB_INS5_IJSK_SP_SP_NSQ_INS5_IJiS2E_NS2A_IiLi64EEEEEELb0EEES2Y_EEENS5_IJSU_SV_SW_SX_SY_EEENS5_IJS1P_SX_SY_NST_IJLi5ELi6ELi7EEEENST_IJLi8ELi9ELi10EEEEEEENST_IJLi5ELi6ELi7ELi8ELi9ELi10EEEElEEEEES35_NS_31BlockToCTileMap_M00_N00_M01_N01ILi128ELi128ES1Y_Lb0EEENS1_30ComputePtrOffsetOfStridedBatchILi1ELi1ELi1EvEELb1ELb1EEEvPKT0_S3D_T1_PT2_T3_T4_T5_iT6_T7_T8_T9_T10_T11_.private_seg_size, 0
	.set _ZN2ck16tensor_operation6device12_GLOBAL__N_137kernel_grouped_conv_fwd_dl_multiple_dINS_32GridwiseGemmDlMultipleD_km_kn_mnILi256EDF16_fNS_5TupleIJDF16_EEEDF16_NS0_12element_wise11PassThroughES8_NS7_7AddReluELNS_25InMemoryDataOperationEnumE0ENS_16TensorDescriptorINS5_IJNS_5EmbedINS5_IJiiiiiEEESD_Lb0EEENS_11PassThroughIiEENS_3PadIiiiLb0EEESI_SI_SG_SG_NSC_INS5_IJiiEEESJ_Lb0EEESK_SK_SG_NS_23Merge_v2_magic_divisionINS5_IJiiiiEEEEESN_NS_8RightPadIiiLb0EEESP_NS_7UnMergeISJ_Lb0EEESG_EEENS5_IJNS_8SequenceIJLi0EEEENST_IJLi1EEEENST_IJLi2EEEENST_IJLi3EEEENST_IJLi4EEEENST_IJLi5EEEENST_IJLi6EEEENST_IJLi7EEEENST_IJLi8EEEENST_IJLi9EEEENST_IJLi10EEEENST_IJLi11ELi13ELi15ELi17EEEENST_IJLi12ELi14ELi16ELi18EEEENST_IJLi19EEEENST_IJLi20EEEENST_IJLi22EEEENST_IJLi21EEEEEEENS5_IJNST_IJLi1ELi2ELi3ELi4ELi5EEEES10_S11_S12_S13_S14_NST_IJLi11EEEENST_IJLi12ELi13EEEENST_IJLi14ELi15EEEENST_IJLi16ELi17EEEENST_IJLi18EEEES17_S18_S1A_S19_NST_IJLi23ELi24EEEENST_IJLi25EEEEEEENST_IJLi23ELi25ELi24EEEElEENSB_INS5_IJSR_SP_SP_SR_SG_EEENS5_IJSU_SV_SW_SY_SX_EEENS5_IJNST_IJLi1ELi2EEEESX_SY_NST_IJLi5ELi6EEEES11_EEENST_IJLi5ELi7ELi6EEEElEENSB_INS5_IJSK_SP_SP_EEENS5_IJSU_SV_SW_EEENS5_IJS1P_SX_SY_EEENST_IJLi3ELi4EEEElEELi128ELi128ELi16ELi2ELi4ELi4ELi1ENST_IJLi8ELi2EEEES1Z_NST_IJLi8ELi1ELi1ELi2EEEENST_IJLi2ELi1ELi128ELi1EEEENST_IJLi1ELi2ELi0ELi3EEEES22_NST_IJLi4ELi1ELi1ELi2EEEES22_NST_IJLi1ELi1ELi1ELi2EEEES20_S21_S22_S22_S23_S22_S24_NST_IJLi0ELi1ELi2ELi3ELi4ELi5EEEELi5ELi4EEEDF16_NS5_IJPKDF16_EEEDF16_S8_S8_S9_NSB_INS5_IJSE_SG_SI_SI_SI_SG_SG_SK_SK_SK_SG_SN_SN_SP_SP_SR_SG_SG_NSQ_INS5_IJiNS_17integral_constantIiLi128EEEEEELb0EEENSF_INS2A_IiLi2EEEEEEEENS5_IJSU_SV_SW_SX_SY_SZ_S10_S11_S12_S13_S14_S15_S16_S17_S18_S19_S1A_NST_IJLi23EEEES1J_NST_IJLi24EEEEEEENS5_IJS1C_S10_S11_S12_S13_S14_S1D_S1E_S1F_S1G_S1H_S17_S18_S1A_S19_S1I_S1J_NST_IJLi26EEEENST_IJLi27ELi28EEEENST_IJLi29EEEEEEENST_IJLi26ELi27ELi28ELi29EEEElEENSB_INS5_IJSR_SP_SP_SR_SG_SG_S2D_S2F_EEENS5_IJSU_SV_SW_SY_SX_SZ_S11_S10_EEENS5_IJS1P_SX_SY_S1Q_S11_S12_NST_IJLi9ELi10EEEES1D_EEENST_IJLi8ELi9ELi10ELi11EEEElEENS5_IJNSB_INS5_IJSK_SP_SP_NSQ_INS5_IJiS2E_NS2A_IiLi64EEEEEELb0EEES2Y_EEENS5_IJSU_SV_SW_SX_SY_EEENS5_IJS1P_SX_SY_NST_IJLi5ELi6ELi7EEEENST_IJLi8ELi9ELi10EEEEEEENST_IJLi5ELi6ELi7ELi8ELi9ELi10EEEElEEEEES35_NS_31BlockToCTileMap_M00_N00_M01_N01ILi128ELi128ES1Y_Lb0EEENS1_30ComputePtrOffsetOfStridedBatchILi1ELi1ELi1EvEELb1ELb1EEEvPKT0_S3D_T1_PT2_T3_T4_T5_iT6_T7_T8_T9_T10_T11_.uses_vcc, 1
	.set _ZN2ck16tensor_operation6device12_GLOBAL__N_137kernel_grouped_conv_fwd_dl_multiple_dINS_32GridwiseGemmDlMultipleD_km_kn_mnILi256EDF16_fNS_5TupleIJDF16_EEEDF16_NS0_12element_wise11PassThroughES8_NS7_7AddReluELNS_25InMemoryDataOperationEnumE0ENS_16TensorDescriptorINS5_IJNS_5EmbedINS5_IJiiiiiEEESD_Lb0EEENS_11PassThroughIiEENS_3PadIiiiLb0EEESI_SI_SG_SG_NSC_INS5_IJiiEEESJ_Lb0EEESK_SK_SG_NS_23Merge_v2_magic_divisionINS5_IJiiiiEEEEESN_NS_8RightPadIiiLb0EEESP_NS_7UnMergeISJ_Lb0EEESG_EEENS5_IJNS_8SequenceIJLi0EEEENST_IJLi1EEEENST_IJLi2EEEENST_IJLi3EEEENST_IJLi4EEEENST_IJLi5EEEENST_IJLi6EEEENST_IJLi7EEEENST_IJLi8EEEENST_IJLi9EEEENST_IJLi10EEEENST_IJLi11ELi13ELi15ELi17EEEENST_IJLi12ELi14ELi16ELi18EEEENST_IJLi19EEEENST_IJLi20EEEENST_IJLi22EEEENST_IJLi21EEEEEEENS5_IJNST_IJLi1ELi2ELi3ELi4ELi5EEEES10_S11_S12_S13_S14_NST_IJLi11EEEENST_IJLi12ELi13EEEENST_IJLi14ELi15EEEENST_IJLi16ELi17EEEENST_IJLi18EEEES17_S18_S1A_S19_NST_IJLi23ELi24EEEENST_IJLi25EEEEEEENST_IJLi23ELi25ELi24EEEElEENSB_INS5_IJSR_SP_SP_SR_SG_EEENS5_IJSU_SV_SW_SY_SX_EEENS5_IJNST_IJLi1ELi2EEEESX_SY_NST_IJLi5ELi6EEEES11_EEENST_IJLi5ELi7ELi6EEEElEENSB_INS5_IJSK_SP_SP_EEENS5_IJSU_SV_SW_EEENS5_IJS1P_SX_SY_EEENST_IJLi3ELi4EEEElEELi128ELi128ELi16ELi2ELi4ELi4ELi1ENST_IJLi8ELi2EEEES1Z_NST_IJLi8ELi1ELi1ELi2EEEENST_IJLi2ELi1ELi128ELi1EEEENST_IJLi1ELi2ELi0ELi3EEEES22_NST_IJLi4ELi1ELi1ELi2EEEES22_NST_IJLi1ELi1ELi1ELi2EEEES20_S21_S22_S22_S23_S22_S24_NST_IJLi0ELi1ELi2ELi3ELi4ELi5EEEELi5ELi4EEEDF16_NS5_IJPKDF16_EEEDF16_S8_S8_S9_NSB_INS5_IJSE_SG_SI_SI_SI_SG_SG_SK_SK_SK_SG_SN_SN_SP_SP_SR_SG_SG_NSQ_INS5_IJiNS_17integral_constantIiLi128EEEEEELb0EEENSF_INS2A_IiLi2EEEEEEEENS5_IJSU_SV_SW_SX_SY_SZ_S10_S11_S12_S13_S14_S15_S16_S17_S18_S19_S1A_NST_IJLi23EEEES1J_NST_IJLi24EEEEEEENS5_IJS1C_S10_S11_S12_S13_S14_S1D_S1E_S1F_S1G_S1H_S17_S18_S1A_S19_S1I_S1J_NST_IJLi26EEEENST_IJLi27ELi28EEEENST_IJLi29EEEEEEENST_IJLi26ELi27ELi28ELi29EEEElEENSB_INS5_IJSR_SP_SP_SR_SG_SG_S2D_S2F_EEENS5_IJSU_SV_SW_SY_SX_SZ_S11_S10_EEENS5_IJS1P_SX_SY_S1Q_S11_S12_NST_IJLi9ELi10EEEES1D_EEENST_IJLi8ELi9ELi10ELi11EEEElEENS5_IJNSB_INS5_IJSK_SP_SP_NSQ_INS5_IJiS2E_NS2A_IiLi64EEEEEELb0EEES2Y_EEENS5_IJSU_SV_SW_SX_SY_EEENS5_IJS1P_SX_SY_NST_IJLi5ELi6ELi7EEEENST_IJLi8ELi9ELi10EEEEEEENST_IJLi5ELi6ELi7ELi8ELi9ELi10EEEElEEEEES35_NS_31BlockToCTileMap_M00_N00_M01_N01ILi128ELi128ES1Y_Lb0EEENS1_30ComputePtrOffsetOfStridedBatchILi1ELi1ELi1EvEELb1ELb1EEEvPKT0_S3D_T1_PT2_T3_T4_T5_iT6_T7_T8_T9_T10_T11_.uses_flat_scratch, 0
	.set _ZN2ck16tensor_operation6device12_GLOBAL__N_137kernel_grouped_conv_fwd_dl_multiple_dINS_32GridwiseGemmDlMultipleD_km_kn_mnILi256EDF16_fNS_5TupleIJDF16_EEEDF16_NS0_12element_wise11PassThroughES8_NS7_7AddReluELNS_25InMemoryDataOperationEnumE0ENS_16TensorDescriptorINS5_IJNS_5EmbedINS5_IJiiiiiEEESD_Lb0EEENS_11PassThroughIiEENS_3PadIiiiLb0EEESI_SI_SG_SG_NSC_INS5_IJiiEEESJ_Lb0EEESK_SK_SG_NS_23Merge_v2_magic_divisionINS5_IJiiiiEEEEESN_NS_8RightPadIiiLb0EEESP_NS_7UnMergeISJ_Lb0EEESG_EEENS5_IJNS_8SequenceIJLi0EEEENST_IJLi1EEEENST_IJLi2EEEENST_IJLi3EEEENST_IJLi4EEEENST_IJLi5EEEENST_IJLi6EEEENST_IJLi7EEEENST_IJLi8EEEENST_IJLi9EEEENST_IJLi10EEEENST_IJLi11ELi13ELi15ELi17EEEENST_IJLi12ELi14ELi16ELi18EEEENST_IJLi19EEEENST_IJLi20EEEENST_IJLi22EEEENST_IJLi21EEEEEEENS5_IJNST_IJLi1ELi2ELi3ELi4ELi5EEEES10_S11_S12_S13_S14_NST_IJLi11EEEENST_IJLi12ELi13EEEENST_IJLi14ELi15EEEENST_IJLi16ELi17EEEENST_IJLi18EEEES17_S18_S1A_S19_NST_IJLi23ELi24EEEENST_IJLi25EEEEEEENST_IJLi23ELi25ELi24EEEElEENSB_INS5_IJSR_SP_SP_SR_SG_EEENS5_IJSU_SV_SW_SY_SX_EEENS5_IJNST_IJLi1ELi2EEEESX_SY_NST_IJLi5ELi6EEEES11_EEENST_IJLi5ELi7ELi6EEEElEENSB_INS5_IJSK_SP_SP_EEENS5_IJSU_SV_SW_EEENS5_IJS1P_SX_SY_EEENST_IJLi3ELi4EEEElEELi128ELi128ELi16ELi2ELi4ELi4ELi1ENST_IJLi8ELi2EEEES1Z_NST_IJLi8ELi1ELi1ELi2EEEENST_IJLi2ELi1ELi128ELi1EEEENST_IJLi1ELi2ELi0ELi3EEEES22_NST_IJLi4ELi1ELi1ELi2EEEES22_NST_IJLi1ELi1ELi1ELi2EEEES20_S21_S22_S22_S23_S22_S24_NST_IJLi0ELi1ELi2ELi3ELi4ELi5EEEELi5ELi4EEEDF16_NS5_IJPKDF16_EEEDF16_S8_S8_S9_NSB_INS5_IJSE_SG_SI_SI_SI_SG_SG_SK_SK_SK_SG_SN_SN_SP_SP_SR_SG_SG_NSQ_INS5_IJiNS_17integral_constantIiLi128EEEEEELb0EEENSF_INS2A_IiLi2EEEEEEEENS5_IJSU_SV_SW_SX_SY_SZ_S10_S11_S12_S13_S14_S15_S16_S17_S18_S19_S1A_NST_IJLi23EEEES1J_NST_IJLi24EEEEEEENS5_IJS1C_S10_S11_S12_S13_S14_S1D_S1E_S1F_S1G_S1H_S17_S18_S1A_S19_S1I_S1J_NST_IJLi26EEEENST_IJLi27ELi28EEEENST_IJLi29EEEEEEENST_IJLi26ELi27ELi28ELi29EEEElEENSB_INS5_IJSR_SP_SP_SR_SG_SG_S2D_S2F_EEENS5_IJSU_SV_SW_SY_SX_SZ_S11_S10_EEENS5_IJS1P_SX_SY_S1Q_S11_S12_NST_IJLi9ELi10EEEES1D_EEENST_IJLi8ELi9ELi10ELi11EEEElEENS5_IJNSB_INS5_IJSK_SP_SP_NSQ_INS5_IJiS2E_NS2A_IiLi64EEEEEELb0EEES2Y_EEENS5_IJSU_SV_SW_SX_SY_EEENS5_IJS1P_SX_SY_NST_IJLi5ELi6ELi7EEEENST_IJLi8ELi9ELi10EEEEEEENST_IJLi5ELi6ELi7ELi8ELi9ELi10EEEElEEEEES35_NS_31BlockToCTileMap_M00_N00_M01_N01ILi128ELi128ES1Y_Lb0EEENS1_30ComputePtrOffsetOfStridedBatchILi1ELi1ELi1EvEELb1ELb1EEEvPKT0_S3D_T1_PT2_T3_T4_T5_iT6_T7_T8_T9_T10_T11_.has_dyn_sized_stack, 0
	.set _ZN2ck16tensor_operation6device12_GLOBAL__N_137kernel_grouped_conv_fwd_dl_multiple_dINS_32GridwiseGemmDlMultipleD_km_kn_mnILi256EDF16_fNS_5TupleIJDF16_EEEDF16_NS0_12element_wise11PassThroughES8_NS7_7AddReluELNS_25InMemoryDataOperationEnumE0ENS_16TensorDescriptorINS5_IJNS_5EmbedINS5_IJiiiiiEEESD_Lb0EEENS_11PassThroughIiEENS_3PadIiiiLb0EEESI_SI_SG_SG_NSC_INS5_IJiiEEESJ_Lb0EEESK_SK_SG_NS_23Merge_v2_magic_divisionINS5_IJiiiiEEEEESN_NS_8RightPadIiiLb0EEESP_NS_7UnMergeISJ_Lb0EEESG_EEENS5_IJNS_8SequenceIJLi0EEEENST_IJLi1EEEENST_IJLi2EEEENST_IJLi3EEEENST_IJLi4EEEENST_IJLi5EEEENST_IJLi6EEEENST_IJLi7EEEENST_IJLi8EEEENST_IJLi9EEEENST_IJLi10EEEENST_IJLi11ELi13ELi15ELi17EEEENST_IJLi12ELi14ELi16ELi18EEEENST_IJLi19EEEENST_IJLi20EEEENST_IJLi22EEEENST_IJLi21EEEEEEENS5_IJNST_IJLi1ELi2ELi3ELi4ELi5EEEES10_S11_S12_S13_S14_NST_IJLi11EEEENST_IJLi12ELi13EEEENST_IJLi14ELi15EEEENST_IJLi16ELi17EEEENST_IJLi18EEEES17_S18_S1A_S19_NST_IJLi23ELi24EEEENST_IJLi25EEEEEEENST_IJLi23ELi25ELi24EEEElEENSB_INS5_IJSR_SP_SP_SR_SG_EEENS5_IJSU_SV_SW_SY_SX_EEENS5_IJNST_IJLi1ELi2EEEESX_SY_NST_IJLi5ELi6EEEES11_EEENST_IJLi5ELi7ELi6EEEElEENSB_INS5_IJSK_SP_SP_EEENS5_IJSU_SV_SW_EEENS5_IJS1P_SX_SY_EEENST_IJLi3ELi4EEEElEELi128ELi128ELi16ELi2ELi4ELi4ELi1ENST_IJLi8ELi2EEEES1Z_NST_IJLi8ELi1ELi1ELi2EEEENST_IJLi2ELi1ELi128ELi1EEEENST_IJLi1ELi2ELi0ELi3EEEES22_NST_IJLi4ELi1ELi1ELi2EEEES22_NST_IJLi1ELi1ELi1ELi2EEEES20_S21_S22_S22_S23_S22_S24_NST_IJLi0ELi1ELi2ELi3ELi4ELi5EEEELi5ELi4EEEDF16_NS5_IJPKDF16_EEEDF16_S8_S8_S9_NSB_INS5_IJSE_SG_SI_SI_SI_SG_SG_SK_SK_SK_SG_SN_SN_SP_SP_SR_SG_SG_NSQ_INS5_IJiNS_17integral_constantIiLi128EEEEEELb0EEENSF_INS2A_IiLi2EEEEEEEENS5_IJSU_SV_SW_SX_SY_SZ_S10_S11_S12_S13_S14_S15_S16_S17_S18_S19_S1A_NST_IJLi23EEEES1J_NST_IJLi24EEEEEEENS5_IJS1C_S10_S11_S12_S13_S14_S1D_S1E_S1F_S1G_S1H_S17_S18_S1A_S19_S1I_S1J_NST_IJLi26EEEENST_IJLi27ELi28EEEENST_IJLi29EEEEEEENST_IJLi26ELi27ELi28ELi29EEEElEENSB_INS5_IJSR_SP_SP_SR_SG_SG_S2D_S2F_EEENS5_IJSU_SV_SW_SY_SX_SZ_S11_S10_EEENS5_IJS1P_SX_SY_S1Q_S11_S12_NST_IJLi9ELi10EEEES1D_EEENST_IJLi8ELi9ELi10ELi11EEEElEENS5_IJNSB_INS5_IJSK_SP_SP_NSQ_INS5_IJiS2E_NS2A_IiLi64EEEEEELb0EEES2Y_EEENS5_IJSU_SV_SW_SX_SY_EEENS5_IJS1P_SX_SY_NST_IJLi5ELi6ELi7EEEENST_IJLi8ELi9ELi10EEEEEEENST_IJLi5ELi6ELi7ELi8ELi9ELi10EEEElEEEEES35_NS_31BlockToCTileMap_M00_N00_M01_N01ILi128ELi128ES1Y_Lb0EEENS1_30ComputePtrOffsetOfStridedBatchILi1ELi1ELi1EvEELb1ELb1EEEvPKT0_S3D_T1_PT2_T3_T4_T5_iT6_T7_T8_T9_T10_T11_.has_recursion, 0
	.set _ZN2ck16tensor_operation6device12_GLOBAL__N_137kernel_grouped_conv_fwd_dl_multiple_dINS_32GridwiseGemmDlMultipleD_km_kn_mnILi256EDF16_fNS_5TupleIJDF16_EEEDF16_NS0_12element_wise11PassThroughES8_NS7_7AddReluELNS_25InMemoryDataOperationEnumE0ENS_16TensorDescriptorINS5_IJNS_5EmbedINS5_IJiiiiiEEESD_Lb0EEENS_11PassThroughIiEENS_3PadIiiiLb0EEESI_SI_SG_SG_NSC_INS5_IJiiEEESJ_Lb0EEESK_SK_SG_NS_23Merge_v2_magic_divisionINS5_IJiiiiEEEEESN_NS_8RightPadIiiLb0EEESP_NS_7UnMergeISJ_Lb0EEESG_EEENS5_IJNS_8SequenceIJLi0EEEENST_IJLi1EEEENST_IJLi2EEEENST_IJLi3EEEENST_IJLi4EEEENST_IJLi5EEEENST_IJLi6EEEENST_IJLi7EEEENST_IJLi8EEEENST_IJLi9EEEENST_IJLi10EEEENST_IJLi11ELi13ELi15ELi17EEEENST_IJLi12ELi14ELi16ELi18EEEENST_IJLi19EEEENST_IJLi20EEEENST_IJLi22EEEENST_IJLi21EEEEEEENS5_IJNST_IJLi1ELi2ELi3ELi4ELi5EEEES10_S11_S12_S13_S14_NST_IJLi11EEEENST_IJLi12ELi13EEEENST_IJLi14ELi15EEEENST_IJLi16ELi17EEEENST_IJLi18EEEES17_S18_S1A_S19_NST_IJLi23ELi24EEEENST_IJLi25EEEEEEENST_IJLi23ELi25ELi24EEEElEENSB_INS5_IJSR_SP_SP_SR_SG_EEENS5_IJSU_SV_SW_SY_SX_EEENS5_IJNST_IJLi1ELi2EEEESX_SY_NST_IJLi5ELi6EEEES11_EEENST_IJLi5ELi7ELi6EEEElEENSB_INS5_IJSK_SP_SP_EEENS5_IJSU_SV_SW_EEENS5_IJS1P_SX_SY_EEENST_IJLi3ELi4EEEElEELi128ELi128ELi16ELi2ELi4ELi4ELi1ENST_IJLi8ELi2EEEES1Z_NST_IJLi8ELi1ELi1ELi2EEEENST_IJLi2ELi1ELi128ELi1EEEENST_IJLi1ELi2ELi0ELi3EEEES22_NST_IJLi4ELi1ELi1ELi2EEEES22_NST_IJLi1ELi1ELi1ELi2EEEES20_S21_S22_S22_S23_S22_S24_NST_IJLi0ELi1ELi2ELi3ELi4ELi5EEEELi5ELi4EEEDF16_NS5_IJPKDF16_EEEDF16_S8_S8_S9_NSB_INS5_IJSE_SG_SI_SI_SI_SG_SG_SK_SK_SK_SG_SN_SN_SP_SP_SR_SG_SG_NSQ_INS5_IJiNS_17integral_constantIiLi128EEEEEELb0EEENSF_INS2A_IiLi2EEEEEEEENS5_IJSU_SV_SW_SX_SY_SZ_S10_S11_S12_S13_S14_S15_S16_S17_S18_S19_S1A_NST_IJLi23EEEES1J_NST_IJLi24EEEEEEENS5_IJS1C_S10_S11_S12_S13_S14_S1D_S1E_S1F_S1G_S1H_S17_S18_S1A_S19_S1I_S1J_NST_IJLi26EEEENST_IJLi27ELi28EEEENST_IJLi29EEEEEEENST_IJLi26ELi27ELi28ELi29EEEElEENSB_INS5_IJSR_SP_SP_SR_SG_SG_S2D_S2F_EEENS5_IJSU_SV_SW_SY_SX_SZ_S11_S10_EEENS5_IJS1P_SX_SY_S1Q_S11_S12_NST_IJLi9ELi10EEEES1D_EEENST_IJLi8ELi9ELi10ELi11EEEElEENS5_IJNSB_INS5_IJSK_SP_SP_NSQ_INS5_IJiS2E_NS2A_IiLi64EEEEEELb0EEES2Y_EEENS5_IJSU_SV_SW_SX_SY_EEENS5_IJS1P_SX_SY_NST_IJLi5ELi6ELi7EEEENST_IJLi8ELi9ELi10EEEEEEENST_IJLi5ELi6ELi7ELi8ELi9ELi10EEEElEEEEES35_NS_31BlockToCTileMap_M00_N00_M01_N01ILi128ELi128ES1Y_Lb0EEENS1_30ComputePtrOffsetOfStridedBatchILi1ELi1ELi1EvEELb1ELb1EEEvPKT0_S3D_T1_PT2_T3_T4_T5_iT6_T7_T8_T9_T10_T11_.has_indirect_call, 0
	.section	.AMDGPU.csdata,"",@progbits
; Kernel info:
; codeLenInByte = 26856
; TotalNumSgprs: 106
; NumVgprs: 183
; NumAgprs: 0
; TotalNumVgprs: 183
; ScratchSize: 0
; MemoryBound: 0
; FloatMode: 240
; IeeeMode: 1
; LDSByteSize: 32768 bytes/workgroup (compile time only)
; SGPRBlocks: 13
; VGPRBlocks: 22
; NumSGPRsForWavesPerEU: 106
; NumVGPRsForWavesPerEU: 183
; AccumOffset: 184
; Occupancy: 2
; WaveLimiterHint : 1
; COMPUTE_PGM_RSRC2:SCRATCH_EN: 0
; COMPUTE_PGM_RSRC2:USER_SGPR: 2
; COMPUTE_PGM_RSRC2:TRAP_HANDLER: 0
; COMPUTE_PGM_RSRC2:TGID_X_EN: 1
; COMPUTE_PGM_RSRC2:TGID_Y_EN: 0
; COMPUTE_PGM_RSRC2:TGID_Z_EN: 0
; COMPUTE_PGM_RSRC2:TIDIG_COMP_CNT: 0
; COMPUTE_PGM_RSRC3_GFX90A:ACCUM_OFFSET: 45
; COMPUTE_PGM_RSRC3_GFX90A:TG_SPLIT: 0
	.section	.text._ZN2ck16tensor_operation6device12_GLOBAL__N_137kernel_grouped_conv_fwd_dl_multiple_dINS_32GridwiseGemmDlMultipleD_km_kn_mnILi256EDF16_fNS_5TupleIJDF16_EEEDF16_NS0_12element_wise11PassThroughES8_NS7_7AddReluELNS_25InMemoryDataOperationEnumE0ENS_16TensorDescriptorINS5_IJNS_5EmbedINS5_IJiiiiiEEESD_Lb0EEENS_11PassThroughIiEENS_3PadIiiiLb0EEESI_SI_SG_SG_NSC_INS5_IJiiEEESJ_Lb0EEESK_SK_SG_NS_23Merge_v2_magic_divisionINS5_IJiiiiEEEEESN_NS_8RightPadIiiLb0EEESP_NS_7UnMergeISJ_Lb0EEESG_EEENS5_IJNS_8SequenceIJLi0EEEENST_IJLi1EEEENST_IJLi2EEEENST_IJLi3EEEENST_IJLi4EEEENST_IJLi5EEEENST_IJLi6EEEENST_IJLi7EEEENST_IJLi8EEEENST_IJLi9EEEENST_IJLi10EEEENST_IJLi11ELi13ELi15ELi17EEEENST_IJLi12ELi14ELi16ELi18EEEENST_IJLi19EEEENST_IJLi20EEEENST_IJLi22EEEENST_IJLi21EEEEEEENS5_IJNST_IJLi1ELi2ELi3ELi4ELi5EEEES10_S11_S12_S13_S14_NST_IJLi11EEEENST_IJLi12ELi13EEEENST_IJLi14ELi15EEEENST_IJLi16ELi17EEEENST_IJLi18EEEES17_S18_S1A_S19_NST_IJLi23ELi24EEEENST_IJLi25EEEEEEENST_IJLi23ELi25ELi24EEEElEENSB_INS5_IJSR_SP_SP_SR_SG_EEENS5_IJSU_SV_SW_SY_SX_EEENS5_IJNST_IJLi1ELi2EEEESX_SY_NST_IJLi5ELi6EEEES11_EEENST_IJLi5ELi7ELi6EEEElEENSB_INS5_IJSK_SP_SP_EEENS5_IJSU_SV_SW_EEENS5_IJS1P_SX_SY_EEENST_IJLi3ELi4EEEElEELi128ELi128ELi16ELi2ELi4ELi4ELi1ENST_IJLi8ELi2EEEES1Z_NST_IJLi8ELi1ELi1ELi2EEEENST_IJLi2ELi1ELi128ELi1EEEENST_IJLi1ELi2ELi0ELi3EEEES22_NST_IJLi4ELi1ELi1ELi2EEEES22_NST_IJLi1ELi1ELi1ELi2EEEES20_S21_S22_S22_S23_S22_S24_NST_IJLi0ELi1ELi2ELi3ELi4ELi5EEEELi5ELi4EEEDF16_NS5_IJPKDF16_EEEDF16_S8_S8_S9_NSB_INS5_IJSE_SG_SI_SI_SI_SG_SG_SK_SK_SK_SG_SN_SN_SP_SP_SR_SG_SG_NSQ_INS5_IJiNS_17integral_constantIiLi128EEEEEELb0EEENSF_INS2A_IiLi2EEEEEEEENS5_IJSU_SV_SW_SX_SY_SZ_S10_S11_S12_S13_S14_S15_S16_S17_S18_S19_S1A_NST_IJLi23EEEES1J_NST_IJLi24EEEEEEENS5_IJS1C_S10_S11_S12_S13_S14_S1D_S1E_S1F_S1G_S1H_S17_S18_S1A_S19_S1I_S1J_NST_IJLi26EEEENST_IJLi27ELi28EEEENST_IJLi29EEEEEEENST_IJLi26ELi27ELi28ELi29EEEElEENSB_INS5_IJSR_SP_SP_SR_SG_SG_S2D_S2F_EEENS5_IJSU_SV_SW_SY_SX_SZ_S11_S10_EEENS5_IJS1P_SX_SY_S1Q_S11_S12_NST_IJLi9ELi10EEEES1D_EEENST_IJLi8ELi9ELi10ELi11EEEElEENS5_IJNSB_INS5_IJSK_SP_SP_NSQ_INS5_IJiS2E_NS2A_IiLi64EEEEEELb0EEES2Y_EEENS5_IJSU_SV_SW_SX_SY_EEENS5_IJS1P_SX_SY_NST_IJLi5ELi6ELi7EEEENST_IJLi8ELi9ELi10EEEEEEENST_IJLi5ELi6ELi7ELi8ELi9ELi10EEEElEEEEES35_NS_31BlockToCTileMap_M00_N00_M01_N01ILi128ELi128ES1Y_Lb0EEENS1_30ComputePtrOffsetOfStridedBatchILi1ELi1ELi1EvEELb1ELb0EEEvPKT0_S3D_T1_PT2_T3_T4_T5_iT6_T7_T8_T9_T10_T11_,"axG",@progbits,_ZN2ck16tensor_operation6device12_GLOBAL__N_137kernel_grouped_conv_fwd_dl_multiple_dINS_32GridwiseGemmDlMultipleD_km_kn_mnILi256EDF16_fNS_5TupleIJDF16_EEEDF16_NS0_12element_wise11PassThroughES8_NS7_7AddReluELNS_25InMemoryDataOperationEnumE0ENS_16TensorDescriptorINS5_IJNS_5EmbedINS5_IJiiiiiEEESD_Lb0EEENS_11PassThroughIiEENS_3PadIiiiLb0EEESI_SI_SG_SG_NSC_INS5_IJiiEEESJ_Lb0EEESK_SK_SG_NS_23Merge_v2_magic_divisionINS5_IJiiiiEEEEESN_NS_8RightPadIiiLb0EEESP_NS_7UnMergeISJ_Lb0EEESG_EEENS5_IJNS_8SequenceIJLi0EEEENST_IJLi1EEEENST_IJLi2EEEENST_IJLi3EEEENST_IJLi4EEEENST_IJLi5EEEENST_IJLi6EEEENST_IJLi7EEEENST_IJLi8EEEENST_IJLi9EEEENST_IJLi10EEEENST_IJLi11ELi13ELi15ELi17EEEENST_IJLi12ELi14ELi16ELi18EEEENST_IJLi19EEEENST_IJLi20EEEENST_IJLi22EEEENST_IJLi21EEEEEEENS5_IJNST_IJLi1ELi2ELi3ELi4ELi5EEEES10_S11_S12_S13_S14_NST_IJLi11EEEENST_IJLi12ELi13EEEENST_IJLi14ELi15EEEENST_IJLi16ELi17EEEENST_IJLi18EEEES17_S18_S1A_S19_NST_IJLi23ELi24EEEENST_IJLi25EEEEEEENST_IJLi23ELi25ELi24EEEElEENSB_INS5_IJSR_SP_SP_SR_SG_EEENS5_IJSU_SV_SW_SY_SX_EEENS5_IJNST_IJLi1ELi2EEEESX_SY_NST_IJLi5ELi6EEEES11_EEENST_IJLi5ELi7ELi6EEEElEENSB_INS5_IJSK_SP_SP_EEENS5_IJSU_SV_SW_EEENS5_IJS1P_SX_SY_EEENST_IJLi3ELi4EEEElEELi128ELi128ELi16ELi2ELi4ELi4ELi1ENST_IJLi8ELi2EEEES1Z_NST_IJLi8ELi1ELi1ELi2EEEENST_IJLi2ELi1ELi128ELi1EEEENST_IJLi1ELi2ELi0ELi3EEEES22_NST_IJLi4ELi1ELi1ELi2EEEES22_NST_IJLi1ELi1ELi1ELi2EEEES20_S21_S22_S22_S23_S22_S24_NST_IJLi0ELi1ELi2ELi3ELi4ELi5EEEELi5ELi4EEEDF16_NS5_IJPKDF16_EEEDF16_S8_S8_S9_NSB_INS5_IJSE_SG_SI_SI_SI_SG_SG_SK_SK_SK_SG_SN_SN_SP_SP_SR_SG_SG_NSQ_INS5_IJiNS_17integral_constantIiLi128EEEEEELb0EEENSF_INS2A_IiLi2EEEEEEEENS5_IJSU_SV_SW_SX_SY_SZ_S10_S11_S12_S13_S14_S15_S16_S17_S18_S19_S1A_NST_IJLi23EEEES1J_NST_IJLi24EEEEEEENS5_IJS1C_S10_S11_S12_S13_S14_S1D_S1E_S1F_S1G_S1H_S17_S18_S1A_S19_S1I_S1J_NST_IJLi26EEEENST_IJLi27ELi28EEEENST_IJLi29EEEEEEENST_IJLi26ELi27ELi28ELi29EEEElEENSB_INS5_IJSR_SP_SP_SR_SG_SG_S2D_S2F_EEENS5_IJSU_SV_SW_SY_SX_SZ_S11_S10_EEENS5_IJS1P_SX_SY_S1Q_S11_S12_NST_IJLi9ELi10EEEES1D_EEENST_IJLi8ELi9ELi10ELi11EEEElEENS5_IJNSB_INS5_IJSK_SP_SP_NSQ_INS5_IJiS2E_NS2A_IiLi64EEEEEELb0EEES2Y_EEENS5_IJSU_SV_SW_SX_SY_EEENS5_IJS1P_SX_SY_NST_IJLi5ELi6ELi7EEEENST_IJLi8ELi9ELi10EEEEEEENST_IJLi5ELi6ELi7ELi8ELi9ELi10EEEElEEEEES35_NS_31BlockToCTileMap_M00_N00_M01_N01ILi128ELi128ES1Y_Lb0EEENS1_30ComputePtrOffsetOfStridedBatchILi1ELi1ELi1EvEELb1ELb0EEEvPKT0_S3D_T1_PT2_T3_T4_T5_iT6_T7_T8_T9_T10_T11_,comdat
	.globl	_ZN2ck16tensor_operation6device12_GLOBAL__N_137kernel_grouped_conv_fwd_dl_multiple_dINS_32GridwiseGemmDlMultipleD_km_kn_mnILi256EDF16_fNS_5TupleIJDF16_EEEDF16_NS0_12element_wise11PassThroughES8_NS7_7AddReluELNS_25InMemoryDataOperationEnumE0ENS_16TensorDescriptorINS5_IJNS_5EmbedINS5_IJiiiiiEEESD_Lb0EEENS_11PassThroughIiEENS_3PadIiiiLb0EEESI_SI_SG_SG_NSC_INS5_IJiiEEESJ_Lb0EEESK_SK_SG_NS_23Merge_v2_magic_divisionINS5_IJiiiiEEEEESN_NS_8RightPadIiiLb0EEESP_NS_7UnMergeISJ_Lb0EEESG_EEENS5_IJNS_8SequenceIJLi0EEEENST_IJLi1EEEENST_IJLi2EEEENST_IJLi3EEEENST_IJLi4EEEENST_IJLi5EEEENST_IJLi6EEEENST_IJLi7EEEENST_IJLi8EEEENST_IJLi9EEEENST_IJLi10EEEENST_IJLi11ELi13ELi15ELi17EEEENST_IJLi12ELi14ELi16ELi18EEEENST_IJLi19EEEENST_IJLi20EEEENST_IJLi22EEEENST_IJLi21EEEEEEENS5_IJNST_IJLi1ELi2ELi3ELi4ELi5EEEES10_S11_S12_S13_S14_NST_IJLi11EEEENST_IJLi12ELi13EEEENST_IJLi14ELi15EEEENST_IJLi16ELi17EEEENST_IJLi18EEEES17_S18_S1A_S19_NST_IJLi23ELi24EEEENST_IJLi25EEEEEEENST_IJLi23ELi25ELi24EEEElEENSB_INS5_IJSR_SP_SP_SR_SG_EEENS5_IJSU_SV_SW_SY_SX_EEENS5_IJNST_IJLi1ELi2EEEESX_SY_NST_IJLi5ELi6EEEES11_EEENST_IJLi5ELi7ELi6EEEElEENSB_INS5_IJSK_SP_SP_EEENS5_IJSU_SV_SW_EEENS5_IJS1P_SX_SY_EEENST_IJLi3ELi4EEEElEELi128ELi128ELi16ELi2ELi4ELi4ELi1ENST_IJLi8ELi2EEEES1Z_NST_IJLi8ELi1ELi1ELi2EEEENST_IJLi2ELi1ELi128ELi1EEEENST_IJLi1ELi2ELi0ELi3EEEES22_NST_IJLi4ELi1ELi1ELi2EEEES22_NST_IJLi1ELi1ELi1ELi2EEEES20_S21_S22_S22_S23_S22_S24_NST_IJLi0ELi1ELi2ELi3ELi4ELi5EEEELi5ELi4EEEDF16_NS5_IJPKDF16_EEEDF16_S8_S8_S9_NSB_INS5_IJSE_SG_SI_SI_SI_SG_SG_SK_SK_SK_SG_SN_SN_SP_SP_SR_SG_SG_NSQ_INS5_IJiNS_17integral_constantIiLi128EEEEEELb0EEENSF_INS2A_IiLi2EEEEEEEENS5_IJSU_SV_SW_SX_SY_SZ_S10_S11_S12_S13_S14_S15_S16_S17_S18_S19_S1A_NST_IJLi23EEEES1J_NST_IJLi24EEEEEEENS5_IJS1C_S10_S11_S12_S13_S14_S1D_S1E_S1F_S1G_S1H_S17_S18_S1A_S19_S1I_S1J_NST_IJLi26EEEENST_IJLi27ELi28EEEENST_IJLi29EEEEEEENST_IJLi26ELi27ELi28ELi29EEEElEENSB_INS5_IJSR_SP_SP_SR_SG_SG_S2D_S2F_EEENS5_IJSU_SV_SW_SY_SX_SZ_S11_S10_EEENS5_IJS1P_SX_SY_S1Q_S11_S12_NST_IJLi9ELi10EEEES1D_EEENST_IJLi8ELi9ELi10ELi11EEEElEENS5_IJNSB_INS5_IJSK_SP_SP_NSQ_INS5_IJiS2E_NS2A_IiLi64EEEEEELb0EEES2Y_EEENS5_IJSU_SV_SW_SX_SY_EEENS5_IJS1P_SX_SY_NST_IJLi5ELi6ELi7EEEENST_IJLi8ELi9ELi10EEEEEEENST_IJLi5ELi6ELi7ELi8ELi9ELi10EEEElEEEEES35_NS_31BlockToCTileMap_M00_N00_M01_N01ILi128ELi128ES1Y_Lb0EEENS1_30ComputePtrOffsetOfStridedBatchILi1ELi1ELi1EvEELb1ELb0EEEvPKT0_S3D_T1_PT2_T3_T4_T5_iT6_T7_T8_T9_T10_T11_ ; -- Begin function _ZN2ck16tensor_operation6device12_GLOBAL__N_137kernel_grouped_conv_fwd_dl_multiple_dINS_32GridwiseGemmDlMultipleD_km_kn_mnILi256EDF16_fNS_5TupleIJDF16_EEEDF16_NS0_12element_wise11PassThroughES8_NS7_7AddReluELNS_25InMemoryDataOperationEnumE0ENS_16TensorDescriptorINS5_IJNS_5EmbedINS5_IJiiiiiEEESD_Lb0EEENS_11PassThroughIiEENS_3PadIiiiLb0EEESI_SI_SG_SG_NSC_INS5_IJiiEEESJ_Lb0EEESK_SK_SG_NS_23Merge_v2_magic_divisionINS5_IJiiiiEEEEESN_NS_8RightPadIiiLb0EEESP_NS_7UnMergeISJ_Lb0EEESG_EEENS5_IJNS_8SequenceIJLi0EEEENST_IJLi1EEEENST_IJLi2EEEENST_IJLi3EEEENST_IJLi4EEEENST_IJLi5EEEENST_IJLi6EEEENST_IJLi7EEEENST_IJLi8EEEENST_IJLi9EEEENST_IJLi10EEEENST_IJLi11ELi13ELi15ELi17EEEENST_IJLi12ELi14ELi16ELi18EEEENST_IJLi19EEEENST_IJLi20EEEENST_IJLi22EEEENST_IJLi21EEEEEEENS5_IJNST_IJLi1ELi2ELi3ELi4ELi5EEEES10_S11_S12_S13_S14_NST_IJLi11EEEENST_IJLi12ELi13EEEENST_IJLi14ELi15EEEENST_IJLi16ELi17EEEENST_IJLi18EEEES17_S18_S1A_S19_NST_IJLi23ELi24EEEENST_IJLi25EEEEEEENST_IJLi23ELi25ELi24EEEElEENSB_INS5_IJSR_SP_SP_SR_SG_EEENS5_IJSU_SV_SW_SY_SX_EEENS5_IJNST_IJLi1ELi2EEEESX_SY_NST_IJLi5ELi6EEEES11_EEENST_IJLi5ELi7ELi6EEEElEENSB_INS5_IJSK_SP_SP_EEENS5_IJSU_SV_SW_EEENS5_IJS1P_SX_SY_EEENST_IJLi3ELi4EEEElEELi128ELi128ELi16ELi2ELi4ELi4ELi1ENST_IJLi8ELi2EEEES1Z_NST_IJLi8ELi1ELi1ELi2EEEENST_IJLi2ELi1ELi128ELi1EEEENST_IJLi1ELi2ELi0ELi3EEEES22_NST_IJLi4ELi1ELi1ELi2EEEES22_NST_IJLi1ELi1ELi1ELi2EEEES20_S21_S22_S22_S23_S22_S24_NST_IJLi0ELi1ELi2ELi3ELi4ELi5EEEELi5ELi4EEEDF16_NS5_IJPKDF16_EEEDF16_S8_S8_S9_NSB_INS5_IJSE_SG_SI_SI_SI_SG_SG_SK_SK_SK_SG_SN_SN_SP_SP_SR_SG_SG_NSQ_INS5_IJiNS_17integral_constantIiLi128EEEEEELb0EEENSF_INS2A_IiLi2EEEEEEEENS5_IJSU_SV_SW_SX_SY_SZ_S10_S11_S12_S13_S14_S15_S16_S17_S18_S19_S1A_NST_IJLi23EEEES1J_NST_IJLi24EEEEEEENS5_IJS1C_S10_S11_S12_S13_S14_S1D_S1E_S1F_S1G_S1H_S17_S18_S1A_S19_S1I_S1J_NST_IJLi26EEEENST_IJLi27ELi28EEEENST_IJLi29EEEEEEENST_IJLi26ELi27ELi28ELi29EEEElEENSB_INS5_IJSR_SP_SP_SR_SG_SG_S2D_S2F_EEENS5_IJSU_SV_SW_SY_SX_SZ_S11_S10_EEENS5_IJS1P_SX_SY_S1Q_S11_S12_NST_IJLi9ELi10EEEES1D_EEENST_IJLi8ELi9ELi10ELi11EEEElEENS5_IJNSB_INS5_IJSK_SP_SP_NSQ_INS5_IJiS2E_NS2A_IiLi64EEEEEELb0EEES2Y_EEENS5_IJSU_SV_SW_SX_SY_EEENS5_IJS1P_SX_SY_NST_IJLi5ELi6ELi7EEEENST_IJLi8ELi9ELi10EEEEEEENST_IJLi5ELi6ELi7ELi8ELi9ELi10EEEElEEEEES35_NS_31BlockToCTileMap_M00_N00_M01_N01ILi128ELi128ES1Y_Lb0EEENS1_30ComputePtrOffsetOfStridedBatchILi1ELi1ELi1EvEELb1ELb0EEEvPKT0_S3D_T1_PT2_T3_T4_T5_iT6_T7_T8_T9_T10_T11_
	.p2align	8
	.type	_ZN2ck16tensor_operation6device12_GLOBAL__N_137kernel_grouped_conv_fwd_dl_multiple_dINS_32GridwiseGemmDlMultipleD_km_kn_mnILi256EDF16_fNS_5TupleIJDF16_EEEDF16_NS0_12element_wise11PassThroughES8_NS7_7AddReluELNS_25InMemoryDataOperationEnumE0ENS_16TensorDescriptorINS5_IJNS_5EmbedINS5_IJiiiiiEEESD_Lb0EEENS_11PassThroughIiEENS_3PadIiiiLb0EEESI_SI_SG_SG_NSC_INS5_IJiiEEESJ_Lb0EEESK_SK_SG_NS_23Merge_v2_magic_divisionINS5_IJiiiiEEEEESN_NS_8RightPadIiiLb0EEESP_NS_7UnMergeISJ_Lb0EEESG_EEENS5_IJNS_8SequenceIJLi0EEEENST_IJLi1EEEENST_IJLi2EEEENST_IJLi3EEEENST_IJLi4EEEENST_IJLi5EEEENST_IJLi6EEEENST_IJLi7EEEENST_IJLi8EEEENST_IJLi9EEEENST_IJLi10EEEENST_IJLi11ELi13ELi15ELi17EEEENST_IJLi12ELi14ELi16ELi18EEEENST_IJLi19EEEENST_IJLi20EEEENST_IJLi22EEEENST_IJLi21EEEEEEENS5_IJNST_IJLi1ELi2ELi3ELi4ELi5EEEES10_S11_S12_S13_S14_NST_IJLi11EEEENST_IJLi12ELi13EEEENST_IJLi14ELi15EEEENST_IJLi16ELi17EEEENST_IJLi18EEEES17_S18_S1A_S19_NST_IJLi23ELi24EEEENST_IJLi25EEEEEEENST_IJLi23ELi25ELi24EEEElEENSB_INS5_IJSR_SP_SP_SR_SG_EEENS5_IJSU_SV_SW_SY_SX_EEENS5_IJNST_IJLi1ELi2EEEESX_SY_NST_IJLi5ELi6EEEES11_EEENST_IJLi5ELi7ELi6EEEElEENSB_INS5_IJSK_SP_SP_EEENS5_IJSU_SV_SW_EEENS5_IJS1P_SX_SY_EEENST_IJLi3ELi4EEEElEELi128ELi128ELi16ELi2ELi4ELi4ELi1ENST_IJLi8ELi2EEEES1Z_NST_IJLi8ELi1ELi1ELi2EEEENST_IJLi2ELi1ELi128ELi1EEEENST_IJLi1ELi2ELi0ELi3EEEES22_NST_IJLi4ELi1ELi1ELi2EEEES22_NST_IJLi1ELi1ELi1ELi2EEEES20_S21_S22_S22_S23_S22_S24_NST_IJLi0ELi1ELi2ELi3ELi4ELi5EEEELi5ELi4EEEDF16_NS5_IJPKDF16_EEEDF16_S8_S8_S9_NSB_INS5_IJSE_SG_SI_SI_SI_SG_SG_SK_SK_SK_SG_SN_SN_SP_SP_SR_SG_SG_NSQ_INS5_IJiNS_17integral_constantIiLi128EEEEEELb0EEENSF_INS2A_IiLi2EEEEEEEENS5_IJSU_SV_SW_SX_SY_SZ_S10_S11_S12_S13_S14_S15_S16_S17_S18_S19_S1A_NST_IJLi23EEEES1J_NST_IJLi24EEEEEEENS5_IJS1C_S10_S11_S12_S13_S14_S1D_S1E_S1F_S1G_S1H_S17_S18_S1A_S19_S1I_S1J_NST_IJLi26EEEENST_IJLi27ELi28EEEENST_IJLi29EEEEEEENST_IJLi26ELi27ELi28ELi29EEEElEENSB_INS5_IJSR_SP_SP_SR_SG_SG_S2D_S2F_EEENS5_IJSU_SV_SW_SY_SX_SZ_S11_S10_EEENS5_IJS1P_SX_SY_S1Q_S11_S12_NST_IJLi9ELi10EEEES1D_EEENST_IJLi8ELi9ELi10ELi11EEEElEENS5_IJNSB_INS5_IJSK_SP_SP_NSQ_INS5_IJiS2E_NS2A_IiLi64EEEEEELb0EEES2Y_EEENS5_IJSU_SV_SW_SX_SY_EEENS5_IJS1P_SX_SY_NST_IJLi5ELi6ELi7EEEENST_IJLi8ELi9ELi10EEEEEEENST_IJLi5ELi6ELi7ELi8ELi9ELi10EEEElEEEEES35_NS_31BlockToCTileMap_M00_N00_M01_N01ILi128ELi128ES1Y_Lb0EEENS1_30ComputePtrOffsetOfStridedBatchILi1ELi1ELi1EvEELb1ELb0EEEvPKT0_S3D_T1_PT2_T3_T4_T5_iT6_T7_T8_T9_T10_T11_,@function
_ZN2ck16tensor_operation6device12_GLOBAL__N_137kernel_grouped_conv_fwd_dl_multiple_dINS_32GridwiseGemmDlMultipleD_km_kn_mnILi256EDF16_fNS_5TupleIJDF16_EEEDF16_NS0_12element_wise11PassThroughES8_NS7_7AddReluELNS_25InMemoryDataOperationEnumE0ENS_16TensorDescriptorINS5_IJNS_5EmbedINS5_IJiiiiiEEESD_Lb0EEENS_11PassThroughIiEENS_3PadIiiiLb0EEESI_SI_SG_SG_NSC_INS5_IJiiEEESJ_Lb0EEESK_SK_SG_NS_23Merge_v2_magic_divisionINS5_IJiiiiEEEEESN_NS_8RightPadIiiLb0EEESP_NS_7UnMergeISJ_Lb0EEESG_EEENS5_IJNS_8SequenceIJLi0EEEENST_IJLi1EEEENST_IJLi2EEEENST_IJLi3EEEENST_IJLi4EEEENST_IJLi5EEEENST_IJLi6EEEENST_IJLi7EEEENST_IJLi8EEEENST_IJLi9EEEENST_IJLi10EEEENST_IJLi11ELi13ELi15ELi17EEEENST_IJLi12ELi14ELi16ELi18EEEENST_IJLi19EEEENST_IJLi20EEEENST_IJLi22EEEENST_IJLi21EEEEEEENS5_IJNST_IJLi1ELi2ELi3ELi4ELi5EEEES10_S11_S12_S13_S14_NST_IJLi11EEEENST_IJLi12ELi13EEEENST_IJLi14ELi15EEEENST_IJLi16ELi17EEEENST_IJLi18EEEES17_S18_S1A_S19_NST_IJLi23ELi24EEEENST_IJLi25EEEEEEENST_IJLi23ELi25ELi24EEEElEENSB_INS5_IJSR_SP_SP_SR_SG_EEENS5_IJSU_SV_SW_SY_SX_EEENS5_IJNST_IJLi1ELi2EEEESX_SY_NST_IJLi5ELi6EEEES11_EEENST_IJLi5ELi7ELi6EEEElEENSB_INS5_IJSK_SP_SP_EEENS5_IJSU_SV_SW_EEENS5_IJS1P_SX_SY_EEENST_IJLi3ELi4EEEElEELi128ELi128ELi16ELi2ELi4ELi4ELi1ENST_IJLi8ELi2EEEES1Z_NST_IJLi8ELi1ELi1ELi2EEEENST_IJLi2ELi1ELi128ELi1EEEENST_IJLi1ELi2ELi0ELi3EEEES22_NST_IJLi4ELi1ELi1ELi2EEEES22_NST_IJLi1ELi1ELi1ELi2EEEES20_S21_S22_S22_S23_S22_S24_NST_IJLi0ELi1ELi2ELi3ELi4ELi5EEEELi5ELi4EEEDF16_NS5_IJPKDF16_EEEDF16_S8_S8_S9_NSB_INS5_IJSE_SG_SI_SI_SI_SG_SG_SK_SK_SK_SG_SN_SN_SP_SP_SR_SG_SG_NSQ_INS5_IJiNS_17integral_constantIiLi128EEEEEELb0EEENSF_INS2A_IiLi2EEEEEEEENS5_IJSU_SV_SW_SX_SY_SZ_S10_S11_S12_S13_S14_S15_S16_S17_S18_S19_S1A_NST_IJLi23EEEES1J_NST_IJLi24EEEEEEENS5_IJS1C_S10_S11_S12_S13_S14_S1D_S1E_S1F_S1G_S1H_S17_S18_S1A_S19_S1I_S1J_NST_IJLi26EEEENST_IJLi27ELi28EEEENST_IJLi29EEEEEEENST_IJLi26ELi27ELi28ELi29EEEElEENSB_INS5_IJSR_SP_SP_SR_SG_SG_S2D_S2F_EEENS5_IJSU_SV_SW_SY_SX_SZ_S11_S10_EEENS5_IJS1P_SX_SY_S1Q_S11_S12_NST_IJLi9ELi10EEEES1D_EEENST_IJLi8ELi9ELi10ELi11EEEElEENS5_IJNSB_INS5_IJSK_SP_SP_NSQ_INS5_IJiS2E_NS2A_IiLi64EEEEEELb0EEES2Y_EEENS5_IJSU_SV_SW_SX_SY_EEENS5_IJS1P_SX_SY_NST_IJLi5ELi6ELi7EEEENST_IJLi8ELi9ELi10EEEEEEENST_IJLi5ELi6ELi7ELi8ELi9ELi10EEEElEEEEES35_NS_31BlockToCTileMap_M00_N00_M01_N01ILi128ELi128ES1Y_Lb0EEENS1_30ComputePtrOffsetOfStridedBatchILi1ELi1ELi1EvEELb1ELb0EEEvPKT0_S3D_T1_PT2_T3_T4_T5_iT6_T7_T8_T9_T10_T11_: ; @_ZN2ck16tensor_operation6device12_GLOBAL__N_137kernel_grouped_conv_fwd_dl_multiple_dINS_32GridwiseGemmDlMultipleD_km_kn_mnILi256EDF16_fNS_5TupleIJDF16_EEEDF16_NS0_12element_wise11PassThroughES8_NS7_7AddReluELNS_25InMemoryDataOperationEnumE0ENS_16TensorDescriptorINS5_IJNS_5EmbedINS5_IJiiiiiEEESD_Lb0EEENS_11PassThroughIiEENS_3PadIiiiLb0EEESI_SI_SG_SG_NSC_INS5_IJiiEEESJ_Lb0EEESK_SK_SG_NS_23Merge_v2_magic_divisionINS5_IJiiiiEEEEESN_NS_8RightPadIiiLb0EEESP_NS_7UnMergeISJ_Lb0EEESG_EEENS5_IJNS_8SequenceIJLi0EEEENST_IJLi1EEEENST_IJLi2EEEENST_IJLi3EEEENST_IJLi4EEEENST_IJLi5EEEENST_IJLi6EEEENST_IJLi7EEEENST_IJLi8EEEENST_IJLi9EEEENST_IJLi10EEEENST_IJLi11ELi13ELi15ELi17EEEENST_IJLi12ELi14ELi16ELi18EEEENST_IJLi19EEEENST_IJLi20EEEENST_IJLi22EEEENST_IJLi21EEEEEEENS5_IJNST_IJLi1ELi2ELi3ELi4ELi5EEEES10_S11_S12_S13_S14_NST_IJLi11EEEENST_IJLi12ELi13EEEENST_IJLi14ELi15EEEENST_IJLi16ELi17EEEENST_IJLi18EEEES17_S18_S1A_S19_NST_IJLi23ELi24EEEENST_IJLi25EEEEEEENST_IJLi23ELi25ELi24EEEElEENSB_INS5_IJSR_SP_SP_SR_SG_EEENS5_IJSU_SV_SW_SY_SX_EEENS5_IJNST_IJLi1ELi2EEEESX_SY_NST_IJLi5ELi6EEEES11_EEENST_IJLi5ELi7ELi6EEEElEENSB_INS5_IJSK_SP_SP_EEENS5_IJSU_SV_SW_EEENS5_IJS1P_SX_SY_EEENST_IJLi3ELi4EEEElEELi128ELi128ELi16ELi2ELi4ELi4ELi1ENST_IJLi8ELi2EEEES1Z_NST_IJLi8ELi1ELi1ELi2EEEENST_IJLi2ELi1ELi128ELi1EEEENST_IJLi1ELi2ELi0ELi3EEEES22_NST_IJLi4ELi1ELi1ELi2EEEES22_NST_IJLi1ELi1ELi1ELi2EEEES20_S21_S22_S22_S23_S22_S24_NST_IJLi0ELi1ELi2ELi3ELi4ELi5EEEELi5ELi4EEEDF16_NS5_IJPKDF16_EEEDF16_S8_S8_S9_NSB_INS5_IJSE_SG_SI_SI_SI_SG_SG_SK_SK_SK_SG_SN_SN_SP_SP_SR_SG_SG_NSQ_INS5_IJiNS_17integral_constantIiLi128EEEEEELb0EEENSF_INS2A_IiLi2EEEEEEEENS5_IJSU_SV_SW_SX_SY_SZ_S10_S11_S12_S13_S14_S15_S16_S17_S18_S19_S1A_NST_IJLi23EEEES1J_NST_IJLi24EEEEEEENS5_IJS1C_S10_S11_S12_S13_S14_S1D_S1E_S1F_S1G_S1H_S17_S18_S1A_S19_S1I_S1J_NST_IJLi26EEEENST_IJLi27ELi28EEEENST_IJLi29EEEEEEENST_IJLi26ELi27ELi28ELi29EEEElEENSB_INS5_IJSR_SP_SP_SR_SG_SG_S2D_S2F_EEENS5_IJSU_SV_SW_SY_SX_SZ_S11_S10_EEENS5_IJS1P_SX_SY_S1Q_S11_S12_NST_IJLi9ELi10EEEES1D_EEENST_IJLi8ELi9ELi10ELi11EEEElEENS5_IJNSB_INS5_IJSK_SP_SP_NSQ_INS5_IJiS2E_NS2A_IiLi64EEEEEELb0EEES2Y_EEENS5_IJSU_SV_SW_SX_SY_EEENS5_IJS1P_SX_SY_NST_IJLi5ELi6ELi7EEEENST_IJLi8ELi9ELi10EEEEEEENST_IJLi5ELi6ELi7ELi8ELi9ELi10EEEElEEEEES35_NS_31BlockToCTileMap_M00_N00_M01_N01ILi128ELi128ES1Y_Lb0EEENS1_30ComputePtrOffsetOfStridedBatchILi1ELi1ELi1EvEELb1ELb0EEEvPKT0_S3D_T1_PT2_T3_T4_T5_iT6_T7_T8_T9_T10_T11_
; %bb.0:
	s_load_dwordx4 s[40:43], s[0:1], 0x0
	s_load_dwordx2 s[34:35], s[0:1], 0x18
	s_load_dword s3, s[0:1], 0x24
	s_load_dwordx4 s[24:27], s[0:1], 0x3c
	s_load_dword s68, s[0:1], 0x4c
	s_load_dword s69, s[0:1], 0x58
	s_load_dwordx4 s[4:7], s[0:1], 0x54
	s_load_dword s70, s[0:1], 0x64
	s_load_dwordx4 s[48:51], s[0:1], 0x60
	s_waitcnt lgkmcnt(0)
	s_abs_i32 s7, s3
	v_cvt_f32_u32_e32 v1, s7
	s_load_dword s51, s[0:1], 0x70
	s_load_dwordx4 s[52:55], s[0:1], 0x6c
	s_load_dwordx4 s[56:59], s[0:1], 0xb8
	s_load_dwordx2 s[46:47], s[0:1], 0xc8
	s_load_dwordx4 s[28:31], s[0:1], 0xec
	s_load_dwordx2 s[64:65], s[0:1], 0xfc
	s_load_dword s8, s[0:1], 0x300
	s_sub_i32 s9, 0, s7
	v_rcp_iflag_f32_e32 v1, v1
	s_waitcnt lgkmcnt(0)
	s_load_dword s53, s[0:1], 0x104
	s_load_dwordx4 s[36:39], s[0:1], 0x10c
	s_load_dword s5, s[0:1], 0x120
	s_load_dword s55, s[0:1], 0x12c
	v_lshlrev_b32_e32 v2, 3, v0
	s_xor_b32 s3, s8, s3
	v_mul_f32_e32 v1, 0x4f7ffffe, v1
	v_cvt_u32_f32_e32 v1, v1
	s_abs_i32 s8, s8
	s_ashr_i32 s3, s3, 31
	v_and_b32_e32 v24, 8, v2
	v_readfirstlane_b32 s10, v1
	s_mul_i32 s9, s9, s10
	s_mul_hi_u32 s9, s10, s9
	s_add_i32 s10, s10, s9
	s_mul_hi_u32 s9, s8, s10
	s_mul_i32 s10, s9, s7
	s_sub_i32 s8, s8, s10
	s_add_i32 s10, s9, 1
	s_sub_i32 s11, s8, s7
	s_cmp_ge_u32 s8, s7
	s_cselect_b32 s9, s10, s9
	s_cselect_b32 s8, s11, s8
	s_add_i32 s10, s9, 1
	s_cmp_ge_u32 s8, s7
	s_cselect_b32 s7, s10, s9
	s_xor_b32 s7, s7, s3
	s_sub_i32 s31, s7, s3
	s_abs_i32 s33, s31
	v_cvt_f32_u32_e32 v1, s33
	s_load_dword s75, s[0:1], 0x13c
	s_load_dword s74, s[0:1], 0x148
	;; [unrolled: 1-line block ×8, first 2 shown]
	s_load_dwordx8 s[16:23], s[0:1], 0x29c
	s_waitcnt lgkmcnt(0)
	s_xor_b32 s17, s2, s31
	s_sub_i32 s31, 0, s33
	v_rcp_iflag_f32_e32 v1, v1
	s_abs_i32 s19, s2
	s_ashr_i32 s17, s17, 31
	s_load_dwordx4 s[60:63], s[0:1], 0x2c0
	s_load_dwordx8 s[8:15], s[0:1], 0x2d8
	v_mul_f32_e32 v1, 0x4f7ffffe, v1
	v_cvt_u32_f32_e32 v1, v1
	v_or_b32_e32 v2, 4, v24
	v_mul_lo_u32 v27, s75, v2
	v_mul_hi_u32 v2, v27, s53
	v_readfirstlane_b32 s39, v1
	s_mul_i32 s31, s31, s39
	s_mul_hi_u32 s31, s39, s31
	s_add_i32 s39, s39, s31
	s_mul_hi_u32 s31, s19, s39
	s_mul_i32 s39, s31, s33
	s_sub_i32 s19, s19, s39
	s_add_i32 s39, s31, 1
	s_sub_i32 s44, s19, s33
	s_cmp_ge_u32 s19, s33
	s_cselect_b32 s31, s39, s31
	s_cselect_b32 s19, s44, s19
	s_add_i32 s39, s31, 1
	s_cmp_ge_u32 s19, s33
	s_cselect_b32 s19, s39, s31
	s_xor_b32 s19, s19, s17
	s_sub_i32 s71, s19, s17
	s_ashr_i32 s72, s71, 31
	s_waitcnt lgkmcnt(0)
	s_mul_i32 s17, s8, s72
	s_mul_hi_u32 s19, s8, s71
	s_add_i32 s17, s19, s17
	s_mul_i32 s9, s9, s71
	s_add_i32 s9, s17, s9
	s_mul_i32 s17, s10, s72
	s_mul_hi_u32 s19, s10, s71
	s_mul_i32 s8, s8, s71
	s_add_i32 s17, s19, s17
	s_mul_i32 s11, s11, s71
	s_add_i32 s11, s17, s11
	s_lshl_b64 s[8:9], s[8:9], 1
	s_mul_i32 s10, s10, s71
	s_add_u32 s40, s40, s8
	s_addc_u32 s19, s41, s9
	s_lshl_b64 s[8:9], s[10:11], 1
	s_add_u32 s44, s42, s8
	s_mul_hi_u32 s8, s23, s2
	s_addc_u32 s17, s43, s9
	s_add_i32 s23, s2, s8
	s_load_dword s31, s[0:1], 0x27c
	s_load_dword s33, s[0:1], 0x28c
	s_load_dwordx4 s[8:11], s[0:1], 0x298
	s_waitcnt lgkmcnt(0)
	s_lshr_b32 s9, s23, s63
	s_mul_hi_u32 s11, s9, s22
	s_add_i32 s11, s9, s11
	s_lshr_b32 s11, s11, s62
	s_mul_hi_u32 s21, s11, s21
	s_add_i32 s21, s11, s21
	s_lshr_b32 s21, s21, s61
	s_mul_i32 s18, s9, s18
	s_sub_i32 s2, s2, s18
	s_mul_hi_u32 s18, s21, s20
	s_add_i32 s18, s21, s18
	v_add_u32_e32 v2, v27, v2
	s_lshr_b32 s18, s18, s60
	v_lshrrev_b32_e32 v2, s38, v2
	s_mul_i32 s16, s21, s16
	s_mul_i32 s18, s18, s8
	v_mul_hi_u32 v3, s65, v2
	s_sub_i32 s16, s11, s16
	s_mul_i32 s11, s11, s10
	s_sub_i32 s8, s21, s18
	v_add_u32_e32 v3, v2, v3
	s_sub_i32 s39, s9, s11
	s_mul_i32 s16, s16, s33
	s_mul_i32 s8, s8, s31
	v_lshrrev_b32_e32 v6, s37, v3
	s_add_i32 s33, s2, s16
	s_add_i32 s39, s39, s8
	s_load_dwordx2 s[62:63], s[0:1], 0x88
	s_load_dwordx2 s[66:67], s[0:1], 0x98
	;; [unrolled: 1-line block ×3, first 2 shown]
	s_load_dwordx4 s[8:11], s[0:1], 0xd8
	s_load_dword s2, s[0:1], 0xd0
	v_mul_lo_u32 v3, v6, s29
	v_mul_lo_u32 v28, s75, v24
	;; [unrolled: 1-line block ×3, first 2 shown]
	v_sub_u32_e32 v80, v2, v3
	v_mul_hi_u32 v2, v28, s53
	v_add_u32_e32 v2, v28, v2
	v_lshrrev_b32_e32 v1, 1, v0
	v_lshrrev_b32_e32 v2, s38, v2
	v_lshl_or_b32 v29, s39, 7, v1
	v_mul_hi_u32 v4, v2, s65
	s_waitcnt lgkmcnt(0)
	v_mul_hi_u32 v3, v29, s2
	v_add_u32_e32 v4, v2, v4
	v_add_u32_e32 v3, v29, v3
	v_lshrrev_b32_e32 v4, s37, v4
	v_lshrrev_b32_e32 v3, s10, v3
	v_mul_hi_u32 v5, v4, s64
	v_mul_lo_u32 v10, v4, s29
	v_add_u32_e32 v5, v4, v5
	v_mul_lo_u32 v9, v3, s58
	v_sub_u32_e32 v10, v2, v10
	v_mul_lo_u32 v8, v2, s30
	v_sub_u32_e32 v9, v29, v9
	v_mul_lo_u32 v2, v10, s60
	v_lshrrev_b32_e32 v11, s36, v5
	v_mad_u64_u32 v[18:19], s[10:11], v9, s61, v[2:3]
	v_mul_lo_u32 v2, v11, s28
	v_sub_u32_e32 v12, v4, v2
	v_mul_hi_u32 v2, v3, s47
	v_add_u32_e32 v2, v3, v2
	v_lshrrev_b32_e32 v2, s9, v2
	v_mul_hi_u32 v4, v2, s46
	v_add_u32_e32 v4, v2, v4
	v_lshrrev_b32_e32 v5, s8, v4
	v_mul_lo_u32 v4, v5, s56
	v_mul_lo_u32 v13, v2, s57
	v_sub_u32_e32 v14, v2, v4
	v_sub_u32_e32 v3, v3, v13
	v_mul_lo_u32 v2, v12, s66
	v_mul_lo_u32 v4, v11, s62
	v_mad_u64_u32 v[22:23], s[8:9], v3, s67, v[2:3]
	v_subrev_u32_e32 v9, s51, v18
	v_sub_u32_e32 v8, v28, v8
	v_mad_u64_u32 v[20:21], s[8:9], v14, s63, v[4:5]
	v_subrev_u32_e32 v2, s70, v22
	v_subrev_u32_e32 v3, s69, v20
	v_mul_lo_u32 v4, v5, s24
	v_mul_lo_u32 v2, v2, s26
	;; [unrolled: 1-line block ×5, first 2 shown]
	v_add3_u32 v2, v5, v9, v2
	v_add3_u32 v9, v2, v4, v3
	v_sub_u32_e32 v81, v27, v7
	v_mul_hi_u32 v7, v6, s64
	s_lshl_b32 s42, s45, 1
	s_and_b32 s41, s19, 0xffff
	s_mov_b32 s43, 0x20000
	v_lshlrev_b32_e32 v2, 1, v9
	v_add_u32_e32 v7, v6, v7
	buffer_load_dwordx4 v[2:5], v2, s[40:43], 0 offen
	v_lshrrev_b32_e32 v110, s36, v7
	v_mul_lo_u32 v7, v110, s28
	v_sub_u32_e32 v10, v80, v10
	v_sub_u32_e32 v111, v6, v7
	;; [unrolled: 1-line block ×4, first 2 shown]
	v_mul_lo_u32 v19, v10, s60
	v_sub_u32_e32 v7, v111, v12
	v_mul_lo_u32 v23, v6, s62
	v_mul_lo_u32 v21, v7, s66
	;; [unrolled: 1-line block ×6, first 2 shown]
	v_add3_u32 v6, v10, v8, v6
	v_lshl_or_b32 v25, s33, 7, v1
	v_add3_u32 v86, v6, v7, v9
	v_mul_lo_u32 v26, s73, v24
	v_lshlrev_b32_e32 v6, 1, v86
	v_mul_lo_u32 v30, v25, s7
	buffer_load_dwordx4 v[6:9], v6, s[40:43], 0 offen
	v_add_u32_e32 v14, v30, v26
	s_and_b32 s45, s17, 0xffff
	s_lshl_b32 s10, s3, 1
	s_mov_b32 s8, s44
	s_mov_b32 s9, s45
	;; [unrolled: 1-line block ×3, first 2 shown]
	v_lshlrev_b32_e32 v10, 1, v14
	buffer_load_dwordx4 v[10:13], v10, s[8:11], 0 offen
	s_lshl_b32 s63, s73, 2
	v_add_lshl_u32 v14, v14, s63, 1
	buffer_load_dwordx4 v[14:17], v14, s[8:11], 0 offen
	s_load_dwordx2 s[20:21], s[0:1], 0x1d0
	s_load_dword s31, s[0:1], 0x1dc
	s_load_dword s49, s[0:1], 0x1e8
	s_load_dwordx2 s[22:23], s[0:1], 0x210
	s_load_dwordx2 s[16:17], s[0:1], 0x220
	s_waitcnt lgkmcnt(0)
	s_load_dword s23, s[0:1], 0x22c
	s_load_dword s24, s[0:1], 0x238
	s_load_dwordx2 s[18:19], s[0:1], 0x260
	s_waitcnt lgkmcnt(0)
	s_sub_i32 s19, s52, s54
	s_sub_i32 s48, s48, s50
	;; [unrolled: 1-line block ×3, first 2 shown]
	v_cmp_gt_i32_e64 s[2:3], s55, v28
	v_cmp_gt_i32_e64 s[6:7], s19, v18
	v_cmp_gt_i32_e32 vcc, s5, v29
	v_cmp_le_i32_e64 s[4:5], s51, v18
	s_and_b64 s[2:3], s[6:7], s[2:3]
	s_and_b64 s[6:7], s[2:3], s[4:5]
	v_cmp_le_i32_e64 s[2:3], s70, v22
	v_cmp_gt_i32_e64 s[4:5], s48, v22
	s_and_b64 s[2:3], s[2:3], s[4:5]
	v_lshrrev_b32_e32 v31, 5, v0
	v_lshlrev_b32_e32 v33, 1, v0
	s_and_b64 s[6:7], s[6:7], s[2:3]
	v_cmp_le_i32_e64 s[2:3], s69, v20
	v_cmp_gt_i32_e64 s[4:5], s50, v20
	v_lshlrev_b32_e32 v32, 6, v31
	v_and_b32_e32 v34, 0x1f8, v33
	s_and_b64 s[2:3], s[2:3], s[4:5]
	v_sub_u32_e32 v32, v34, v32
	v_lshlrev_b32_e32 v0, 2, v0
	s_and_b64 s[2:3], s[6:7], s[2:3]
	v_and_or_b32 v85, v0, 4, v32
	v_lshlrev_b32_e32 v0, 3, v31
	s_and_b64 s[2:3], vcc, s[2:3]
	v_add_u32_e32 v113, v18, v19
	v_and_or_b32 v88, v33, 4, v0
	v_cmp_gt_i32_e64 s[6:7], s19, v113
	v_add_u32_e32 v83, v22, v21
	v_cmp_le_i32_e64 s[4:5], s51, v113
	v_add_u32_e32 v82, v20, v23
	v_lshlrev_b32_e32 v1, 2, v1
	v_lshl_or_b32 v91, v24, 9, v1
	v_or_b32_e32 v1, 32, v24
	v_mul_lo_u32 v93, s73, v1
	v_mul_lo_u32 v101, s75, v1
	s_mov_b32 s56, s29
	s_mov_b32 s57, s30
	;; [unrolled: 1-line block ×8, first 2 shown]
	s_waitcnt vmcnt(3)
	v_cndmask_b32_e64 v0, 0, v5, s[2:3]
	v_cndmask_b32_e64 v4, 0, v4, s[2:3]
	;; [unrolled: 1-line block ×4, first 2 shown]
	v_cmp_gt_i32_e64 s[2:3], s55, v27
	s_and_b64 s[2:3], s[6:7], s[2:3]
	s_and_b64 s[6:7], s[2:3], s[4:5]
	v_cmp_le_i32_e64 s[2:3], s70, v83
	v_cmp_gt_i32_e64 s[4:5], s48, v83
	s_and_b64 s[2:3], s[2:3], s[4:5]
	s_and_b64 s[6:7], s[6:7], s[2:3]
	v_cmp_le_i32_e64 s[2:3], s69, v82
	v_cmp_gt_i32_e64 s[4:5], s50, v82
	s_and_b64 s[2:3], s[2:3], s[4:5]
	s_and_b64 s[2:3], s[6:7], s[2:3]
	s_and_b64 s[2:3], vcc, s[2:3]
	v_cmp_gt_i32_e64 s[4:5], s59, v26
	v_lshlrev_b32_e32 v89, 2, v88
	v_lshlrev_b32_e32 v90, 2, v85
	s_mul_i32 s65, s66, s26
	s_mul_i32 s62, s62, s25
	s_waitcnt vmcnt(2)
	v_cndmask_b32_e64 v5, 0, v9, s[2:3]
	v_cndmask_b32_e64 v8, 0, v8, s[2:3]
	;; [unrolled: 1-line block ×4, first 2 shown]
	v_cmp_gt_i32_e64 s[2:3], s76, v25
	s_and_b64 s[4:5], s[4:5], s[2:3]
	s_lshl_b32 s66, s73, 5
	v_lshlrev_b32_e32 v97, 1, v30
	s_waitcnt vmcnt(1)
	v_cndmask_b32_e64 v9, 0, v13, s[4:5]
	v_add_u32_e32 v13, s63, v26
	v_cndmask_b32_e64 v12, 0, v12, s[4:5]
	v_cndmask_b32_e64 v11, 0, v11, s[4:5]
	;; [unrolled: 1-line block ×3, first 2 shown]
	v_cmp_gt_i32_e64 s[4:5], s59, v13
	s_and_b64 s[4:5], s[4:5], s[2:3]
	s_sub_i32 s63, s74, 32
	s_waitcnt vmcnt(0)
	v_cndmask_b32_e64 v13, 0, v17, s[4:5]
	v_cndmask_b32_e64 v16, 0, v16, s[4:5]
	;; [unrolled: 1-line block ×4, first 2 shown]
	ds_write2st64_b32 v91, v2, v3 offset1:2
	ds_write2st64_b32 v91, v4, v0 offset0:4 offset1:6
	ds_write2st64_b32 v91, v6, v7 offset0:8 offset1:10
	;; [unrolled: 1-line block ×7, first 2 shown]
	v_or_b32_e32 v0, 36, v24
	v_or_b32_e32 v2, 20, v24
	;; [unrolled: 1-line block ×3, first 2 shown]
	v_mul_lo_u32 v92, s73, v0
	v_mul_lo_u32 v94, s73, v2
	;; [unrolled: 1-line block ×6, first 2 shown]
	v_lshlrev_b32_e32 v96, 1, v92
	s_lshl_b32 s67, s73, 6
	v_lshlrev_b32_e32 v98, 1, v93
	s_lshl_b32 s73, s75, 5
	s_sub_i32 s74, 0, s30
	v_mov_b32_e32 v40, 0
	s_mov_b32 s75, 0
	v_mov_b32_e32 v37, 0
	v_mov_b32_e32 v36, 0
	v_mov_b32_e32 v39, 0
	v_mov_b32_e32 v38, 0
	v_mov_b32_e32 v33, 0
	v_mov_b32_e32 v32, 0
	v_mov_b32_e32 v35, 0
	v_mov_b32_e32 v34, 0
	v_mov_b32_e32 v25, 0
	v_mov_b32_e32 v24, 0
	v_mov_b32_e32 v27, 0
	v_mov_b32_e32 v26, 0
	v_mov_b32_e32 v29, 0
	v_mov_b32_e32 v28, 0
	v_mov_b32_e32 v31, 0
	v_mov_b32_e32 v30, 0
	v_mov_b32_e32 v21, 0
	v_mov_b32_e32 v20, 0
	v_mov_b32_e32 v23, 0
	v_mov_b32_e32 v22, 0
	v_mov_b32_e32 v17, 0
	v_mov_b32_e32 v16, 0
	v_mov_b32_e32 v19, 0
	v_mov_b32_e32 v18, 0
	v_mov_b32_e32 v53, 0
	v_mov_b32_e32 v52, 0
	v_mov_b32_e32 v55, 0
	v_mov_b32_e32 v54, 0
	v_mov_b32_e32 v49, 0
	v_mov_b32_e32 v48, 0
	v_mov_b32_e32 v51, 0
	v_mov_b32_e32 v50, 0
	v_mov_b32_e32 v57, 0
	v_mov_b32_e32 v56, 0
	v_mov_b32_e32 v59, 0
	v_mov_b32_e32 v58, 0
	v_mov_b32_e32 v61, 0
	v_mov_b32_e32 v60, 0
	v_mov_b32_e32 v63, 0
	v_mov_b32_e32 v62, 0
	v_mov_b32_e32 v69, 0
	v_mov_b32_e32 v68, 0
	v_mov_b32_e32 v71, 0
	v_mov_b32_e32 v70, 0
	v_mov_b32_e32 v65, 0
	v_mov_b32_e32 v64, 0
	v_mov_b32_e32 v67, 0
	v_mov_b32_e32 v66, 0
	v_mov_b32_e32 v73, 0
	v_mov_b32_e32 v72, 0
	v_mov_b32_e32 v75, 0
	v_mov_b32_e32 v74, 0
	v_mov_b32_e32 v77, 0
	v_mov_b32_e32 v76, 0
	v_mov_b32_e32 v79, 0
	v_mov_b32_e32 v78, 0
	v_mov_b32_e32 v41, 0
	v_mov_b32_e32 v46, 0
	v_mov_b32_e32 v47, 0
	v_mov_b32_e32 v44, 0
	v_mov_b32_e32 v45, 0
	v_mov_b32_e32 v42, 0
	v_mov_b32_e32 v43, 0
	s_mov_b32 s76, 0
	v_lshlrev_b32_e32 v103, 1, v94
	v_lshlrev_b32_e32 v104, 1, v95
	v_sub_u32_e32 v105, 0, v101
	v_mov_b32_e32 v106, v102
	v_mov_b32_e32 v107, v101
	;; [unrolled: 1-line block ×4, first 2 shown]
.LBB10_1:                               ; =>This Inner Loop Header: Depth=1
	v_mul_hi_u32 v0, s53, v109
	v_add_u32_e32 v114, s58, v99
	v_add_u32_e32 v0, v114, v0
	v_lshrrev_b32_e32 v0, s38, v0
	v_mul_hi_u32 v3, s52, v0
	v_add_u32_e32 v3, v0, v3
	v_lshrrev_b32_e32 v3, s37, v3
	v_mul_lo_u32 v4, v3, s29
	v_mul_lo_u32 v1, s74, v0
	v_sub_u32_e32 v0, v0, v4
	v_sub_u32_e32 v2, v1, v81
	;; [unrolled: 1-line block ×3, first 2 shown]
	v_add_u32_e32 v2, v114, v2
	v_mul_lo_u32 v81, v4, s60
	v_mul_lo_u32 v2, v2, s68
	;; [unrolled: 1-line block ×3, first 2 shown]
	v_add3_u32 v2, v2, v86, v4
	v_mul_hi_u32 v4, s53, v108
	v_add_u32_e32 v80, s58, v100
	v_add_u32_e32 v4, v80, v4
	v_lshrrev_b32_e32 v4, s38, v4
	v_mul_hi_u32 v5, s52, v4
	v_add_u32_e32 v5, v4, v5
	v_lshrrev_b32_e32 v5, s37, v5
	v_mul_lo_u32 v6, v5, s29
	v_sub_u32_e32 v116, v4, v6
	v_mad_u64_u32 v[86:87], s[4:5], s74, v4, v[80:81]
	v_mul_hi_u32 v4, v3, s64
	v_mul_hi_u32 v6, v5, s64
	v_add_u32_e32 v4, v3, v4
	v_add_u32_e32 v6, v5, v6
	v_sub_u32_e32 v0, v116, v0
	v_lshrrev_b32_e32 v4, s36, v4
	v_lshrrev_b32_e32 v87, s36, v6
	v_add_u32_e32 v1, v114, v1
	v_mul_lo_u32 v115, v0, s60
	v_sub_u32_e32 v0, v87, v4
	v_sub_u32_e32 v1, v86, v1
	v_mul_lo_u32 v117, v0, s54
	v_mul_lo_u32 v1, v1, s68
	;; [unrolled: 1-line block ×4, first 2 shown]
	v_add3_u32 v0, v0, v1, v6
	v_sub_u32_e32 v1, v4, v110
	v_mul_lo_u32 v4, v4, s28
	v_sub_u32_e32 v3, v3, v4
	v_mul_lo_u32 v118, v1, s54
	;; [unrolled: 2-line block ×3, first 2 shown]
	v_mul_lo_u32 v1, v118, s25
	v_mul_lo_u32 v4, v119, s26
	v_add3_u32 v1, v2, v1, v4
	v_mul_lo_u32 v2, v87, s28
	v_sub_u32_e32 v111, v5, v2
	v_sub_u32_e32 v2, v111, v3
	v_mul_lo_u32 v110, v2, s61
	v_mul_lo_u32 v2, v110, s26
	v_add3_u32 v112, v0, v1, v2
	v_lshlrev_b32_e32 v0, 1, v1
	v_add_u32_e32 v1, v104, v97
	v_add_u32_e32 v2, v103, v97
	v_lshlrev_b32_e32 v3, 1, v112
	buffer_load_dwordx4 v[12:15], v1, s[44:47], 0 offen
	buffer_load_dwordx4 v[8:11], v2, s[44:47], 0 offen
	;; [unrolled: 1-line block ×3, first 2 shown]
	s_nop 0
	buffer_load_dwordx4 v[0:3], v3, s[40:43], 0 offen
	s_waitcnt lgkmcnt(0)
	s_barrier
	ds_read_b128 v[120:123], v89
	ds_read_b128 v[124:127], v90 offset:16384
	ds_read_b128 v[128:131], v90 offset:16640
	;; [unrolled: 1-line block ×3, first 2 shown]
	v_add_u32_e32 v84, s58, v101
	v_add_u32_e32 v81, v81, v113
	s_waitcnt lgkmcnt(2)
	v_dot2c_f32_f16_e32 v78, v120, v124
	v_dot2c_f32_f16_e32 v79, v120, v125
	v_dot2c_f32_f16_e32 v76, v120, v126
	v_dot2c_f32_f16_e32 v77, v120, v127
	v_dot2c_f32_f16_e32 v66, v121, v124
	v_dot2c_f32_f16_e32 v67, v121, v125
	v_dot2c_f32_f16_e32 v64, v121, v126
	v_dot2c_f32_f16_e32 v65, v121, v127
	v_dot2c_f32_f16_e32 v62, v122, v124
	v_dot2c_f32_f16_e32 v63, v122, v125
	v_dot2c_f32_f16_e32 v60, v122, v126
	v_dot2c_f32_f16_e32 v61, v122, v127
	v_dot2c_f32_f16_e32 v50, v123, v124
	v_dot2c_f32_f16_e32 v51, v123, v125
	v_dot2c_f32_f16_e32 v48, v123, v126
	v_dot2c_f32_f16_e32 v49, v123, v127
	s_waitcnt lgkmcnt(1)
	v_dot2c_f32_f16_e32 v74, v120, v128
	v_dot2c_f32_f16_e32 v75, v120, v129
	v_dot2c_f32_f16_e32 v72, v120, v130
	v_dot2c_f32_f16_e32 v73, v120, v131
	v_dot2c_f32_f16_e32 v70, v121, v128
	v_dot2c_f32_f16_e32 v71, v121, v129
	v_dot2c_f32_f16_e32 v68, v121, v130
	v_dot2c_f32_f16_e32 v69, v121, v131
	v_dot2c_f32_f16_e32 v58, v122, v128
	v_dot2c_f32_f16_e32 v59, v122, v129
	v_dot2c_f32_f16_e32 v56, v122, v130
	v_dot2c_f32_f16_e32 v57, v122, v131
	v_dot2c_f32_f16_e32 v54, v123, v128
	v_dot2c_f32_f16_e32 v55, v123, v129
	v_dot2c_f32_f16_e32 v52, v123, v130
	v_dot2c_f32_f16_e32 v53, v123, v131
	;; [unrolled: 17-line block ×3, first 2 shown]
	v_dot2c_f32_f16_e32 v22, v132, v128
	v_dot2c_f32_f16_e32 v23, v132, v129
	v_dot2c_f32_f16_e32 v20, v132, v130
	v_dot2c_f32_f16_e32 v21, v132, v131
	v_dot2c_f32_f16_e32 v26, v133, v128
	v_dot2c_f32_f16_e32 v27, v133, v129
	v_dot2c_f32_f16_e32 v24, v133, v130
	v_dot2c_f32_f16_e32 v25, v133, v131
	v_dot2c_f32_f16_e32 v38, v134, v128
	v_dot2c_f32_f16_e32 v39, v134, v129
	v_dot2c_f32_f16_e32 v36, v134, v130
	v_dot2c_f32_f16_e32 v37, v134, v131
	v_dot2c_f32_f16_e32 v44, v135, v128
	v_dot2c_f32_f16_e32 v45, v135, v129
	v_dot2c_f32_f16_e32 v42, v135, v130
	v_dot2c_f32_f16_e32 v43, v135, v131
	ds_read_b128 v[120:123], v89 offset:512
	ds_read_b128 v[124:127], v90 offset:16896
	;; [unrolled: 1-line block ×4, first 2 shown]
	v_add_u32_e32 v82, v118, v82
	v_cmp_gt_i32_e64 s[8:9], s19, v81
	s_waitcnt lgkmcnt(2)
	v_dot2c_f32_f16_e32 v78, v120, v124
	v_dot2c_f32_f16_e32 v79, v120, v125
	v_dot2c_f32_f16_e32 v76, v120, v126
	v_dot2c_f32_f16_e32 v77, v120, v127
	v_dot2c_f32_f16_e32 v66, v121, v124
	v_dot2c_f32_f16_e32 v67, v121, v125
	v_dot2c_f32_f16_e32 v64, v121, v126
	v_dot2c_f32_f16_e32 v65, v121, v127
	v_dot2c_f32_f16_e32 v62, v122, v124
	v_dot2c_f32_f16_e32 v63, v122, v125
	v_dot2c_f32_f16_e32 v60, v122, v126
	v_dot2c_f32_f16_e32 v61, v122, v127
	v_dot2c_f32_f16_e32 v50, v123, v124
	v_dot2c_f32_f16_e32 v51, v123, v125
	v_dot2c_f32_f16_e32 v48, v123, v126
	v_dot2c_f32_f16_e32 v49, v123, v127
	s_waitcnt lgkmcnt(1)
	v_dot2c_f32_f16_e32 v74, v120, v128
	v_dot2c_f32_f16_e32 v75, v120, v129
	v_dot2c_f32_f16_e32 v72, v120, v130
	v_dot2c_f32_f16_e32 v73, v120, v131
	v_dot2c_f32_f16_e32 v70, v121, v128
	v_dot2c_f32_f16_e32 v71, v121, v129
	v_dot2c_f32_f16_e32 v68, v121, v130
	v_dot2c_f32_f16_e32 v69, v121, v131
	v_dot2c_f32_f16_e32 v58, v122, v128
	v_dot2c_f32_f16_e32 v59, v122, v129
	v_dot2c_f32_f16_e32 v56, v122, v130
	v_dot2c_f32_f16_e32 v57, v122, v131
	v_dot2c_f32_f16_e32 v54, v123, v128
	v_dot2c_f32_f16_e32 v55, v123, v129
	v_dot2c_f32_f16_e32 v52, v123, v130
	v_dot2c_f32_f16_e32 v53, v123, v131
	;; [unrolled: 17-line block ×3, first 2 shown]
	v_dot2c_f32_f16_e32 v22, v132, v128
	v_dot2c_f32_f16_e32 v23, v132, v129
	;; [unrolled: 1-line block ×16, first 2 shown]
	ds_read_b128 v[120:123], v89 offset:1024
	ds_read_b128 v[124:127], v90 offset:17408
	;; [unrolled: 1-line block ×4, first 2 shown]
	v_add_u32_e32 v83, v119, v83
	v_cmp_le_i32_e64 s[6:7], s51, v81
	s_waitcnt lgkmcnt(2)
	v_dot2c_f32_f16_e32 v78, v120, v124
	v_dot2c_f32_f16_e32 v79, v120, v125
	v_dot2c_f32_f16_e32 v76, v120, v126
	v_dot2c_f32_f16_e32 v77, v120, v127
	v_dot2c_f32_f16_e32 v66, v121, v124
	v_dot2c_f32_f16_e32 v67, v121, v125
	v_dot2c_f32_f16_e32 v64, v121, v126
	v_dot2c_f32_f16_e32 v65, v121, v127
	v_dot2c_f32_f16_e32 v62, v122, v124
	v_dot2c_f32_f16_e32 v63, v122, v125
	v_dot2c_f32_f16_e32 v60, v122, v126
	v_dot2c_f32_f16_e32 v61, v122, v127
	v_dot2c_f32_f16_e32 v50, v123, v124
	v_dot2c_f32_f16_e32 v51, v123, v125
	v_dot2c_f32_f16_e32 v48, v123, v126
	v_dot2c_f32_f16_e32 v49, v123, v127
	s_waitcnt lgkmcnt(1)
	v_dot2c_f32_f16_e32 v74, v120, v128
	v_dot2c_f32_f16_e32 v75, v120, v129
	v_dot2c_f32_f16_e32 v72, v120, v130
	v_dot2c_f32_f16_e32 v73, v120, v131
	v_dot2c_f32_f16_e32 v70, v121, v128
	v_dot2c_f32_f16_e32 v71, v121, v129
	v_dot2c_f32_f16_e32 v68, v121, v130
	v_dot2c_f32_f16_e32 v69, v121, v131
	v_dot2c_f32_f16_e32 v58, v122, v128
	v_dot2c_f32_f16_e32 v59, v122, v129
	v_dot2c_f32_f16_e32 v56, v122, v130
	v_dot2c_f32_f16_e32 v57, v122, v131
	v_dot2c_f32_f16_e32 v54, v123, v128
	v_dot2c_f32_f16_e32 v55, v123, v129
	v_dot2c_f32_f16_e32 v52, v123, v130
	v_dot2c_f32_f16_e32 v53, v123, v131
	;; [unrolled: 17-line block ×3, first 2 shown]
	v_dot2c_f32_f16_e32 v22, v132, v128
	v_dot2c_f32_f16_e32 v23, v132, v129
	;; [unrolled: 1-line block ×16, first 2 shown]
	ds_read_b128 v[120:123], v89 offset:1536
	ds_read_b128 v[124:127], v90 offset:17920
	ds_read_b128 v[128:131], v90 offset:18176
	ds_read_b128 v[132:135], v89 offset:1792
	v_add_u32_e32 v115, v115, v81
	v_add_u32_e32 v113, v110, v83
	s_waitcnt lgkmcnt(2)
	v_dot2c_f32_f16_e32 v78, v120, v124
	v_dot2c_f32_f16_e32 v79, v120, v125
	v_dot2c_f32_f16_e32 v76, v120, v126
	v_dot2c_f32_f16_e32 v77, v120, v127
	v_dot2c_f32_f16_e32 v66, v121, v124
	v_dot2c_f32_f16_e32 v67, v121, v125
	v_dot2c_f32_f16_e32 v64, v121, v126
	v_dot2c_f32_f16_e32 v65, v121, v127
	v_dot2c_f32_f16_e32 v62, v122, v124
	v_dot2c_f32_f16_e32 v63, v122, v125
	v_dot2c_f32_f16_e32 v60, v122, v126
	v_dot2c_f32_f16_e32 v61, v122, v127
	v_dot2c_f32_f16_e32 v50, v123, v124
	v_dot2c_f32_f16_e32 v51, v123, v125
	v_dot2c_f32_f16_e32 v48, v123, v126
	v_dot2c_f32_f16_e32 v49, v123, v127
	s_waitcnt lgkmcnt(1)
	v_dot2c_f32_f16_e32 v74, v120, v128
	v_dot2c_f32_f16_e32 v75, v120, v129
	v_dot2c_f32_f16_e32 v72, v120, v130
	v_dot2c_f32_f16_e32 v73, v120, v131
	v_dot2c_f32_f16_e32 v70, v121, v128
	v_dot2c_f32_f16_e32 v71, v121, v129
	v_dot2c_f32_f16_e32 v68, v121, v130
	v_dot2c_f32_f16_e32 v69, v121, v131
	v_dot2c_f32_f16_e32 v58, v122, v128
	v_dot2c_f32_f16_e32 v59, v122, v129
	v_dot2c_f32_f16_e32 v56, v122, v130
	v_dot2c_f32_f16_e32 v57, v122, v131
	v_dot2c_f32_f16_e32 v54, v123, v128
	v_dot2c_f32_f16_e32 v55, v123, v129
	v_dot2c_f32_f16_e32 v52, v123, v130
	v_dot2c_f32_f16_e32 v53, v123, v131
	s_waitcnt lgkmcnt(0)
	v_dot2c_f32_f16_e32 v18, v132, v124
	v_dot2c_f32_f16_e32 v19, v132, v125
	v_dot2c_f32_f16_e32 v16, v132, v126
	v_dot2c_f32_f16_e32 v17, v132, v127
	v_dot2c_f32_f16_e32 v30, v133, v124
	v_dot2c_f32_f16_e32 v31, v133, v125
	v_dot2c_f32_f16_e32 v28, v133, v126
	v_dot2c_f32_f16_e32 v29, v133, v127
	v_dot2c_f32_f16_e32 v34, v134, v124
	v_dot2c_f32_f16_e32 v35, v134, v125
	v_dot2c_f32_f16_e32 v32, v134, v126
	v_dot2c_f32_f16_e32 v33, v134, v127
	v_dot2c_f32_f16_e32 v40, v135, v124
	v_dot2c_f32_f16_e32 v41, v135, v125
	v_dot2c_f32_f16_e32 v46, v135, v126
	v_dot2c_f32_f16_e32 v47, v135, v127
	v_dot2c_f32_f16_e32 v22, v132, v128
	v_dot2c_f32_f16_e32 v23, v132, v129
	;; [unrolled: 1-line block ×16, first 2 shown]
	ds_read_b128 v[120:123], v89 offset:2048
	ds_read_b128 v[124:127], v90 offset:18432
	;; [unrolled: 1-line block ×4, first 2 shown]
	s_add_i32 s76, s76, 32
	v_add_u32_e32 v109, s73, v109
	s_waitcnt lgkmcnt(2)
	v_dot2c_f32_f16_e32 v78, v120, v124
	v_dot2c_f32_f16_e32 v79, v120, v125
	v_dot2c_f32_f16_e32 v76, v120, v126
	v_dot2c_f32_f16_e32 v77, v120, v127
	v_dot2c_f32_f16_e32 v66, v121, v124
	v_dot2c_f32_f16_e32 v67, v121, v125
	v_dot2c_f32_f16_e32 v64, v121, v126
	v_dot2c_f32_f16_e32 v65, v121, v127
	v_dot2c_f32_f16_e32 v62, v122, v124
	v_dot2c_f32_f16_e32 v63, v122, v125
	v_dot2c_f32_f16_e32 v60, v122, v126
	v_dot2c_f32_f16_e32 v61, v122, v127
	v_dot2c_f32_f16_e32 v50, v123, v124
	v_dot2c_f32_f16_e32 v51, v123, v125
	v_dot2c_f32_f16_e32 v48, v123, v126
	v_dot2c_f32_f16_e32 v49, v123, v127
	s_waitcnt lgkmcnt(1)
	v_dot2c_f32_f16_e32 v74, v120, v128
	v_dot2c_f32_f16_e32 v75, v120, v129
	v_dot2c_f32_f16_e32 v72, v120, v130
	v_dot2c_f32_f16_e32 v73, v120, v131
	v_dot2c_f32_f16_e32 v70, v121, v128
	v_dot2c_f32_f16_e32 v71, v121, v129
	v_dot2c_f32_f16_e32 v68, v121, v130
	v_dot2c_f32_f16_e32 v69, v121, v131
	v_dot2c_f32_f16_e32 v58, v122, v128
	v_dot2c_f32_f16_e32 v59, v122, v129
	v_dot2c_f32_f16_e32 v56, v122, v130
	v_dot2c_f32_f16_e32 v57, v122, v131
	v_dot2c_f32_f16_e32 v54, v123, v128
	v_dot2c_f32_f16_e32 v55, v123, v129
	v_dot2c_f32_f16_e32 v52, v123, v130
	v_dot2c_f32_f16_e32 v53, v123, v131
	s_waitcnt lgkmcnt(0)
	v_dot2c_f32_f16_e32 v18, v132, v124
	v_dot2c_f32_f16_e32 v19, v132, v125
	v_dot2c_f32_f16_e32 v16, v132, v126
	v_dot2c_f32_f16_e32 v17, v132, v127
	v_dot2c_f32_f16_e32 v30, v133, v124
	v_dot2c_f32_f16_e32 v31, v133, v125
	v_dot2c_f32_f16_e32 v28, v133, v126
	v_dot2c_f32_f16_e32 v29, v133, v127
	v_dot2c_f32_f16_e32 v34, v134, v124
	v_dot2c_f32_f16_e32 v35, v134, v125
	v_dot2c_f32_f16_e32 v32, v134, v126
	v_dot2c_f32_f16_e32 v33, v134, v127
	v_dot2c_f32_f16_e32 v40, v135, v124
	v_dot2c_f32_f16_e32 v41, v135, v125
	v_dot2c_f32_f16_e32 v46, v135, v126
	v_dot2c_f32_f16_e32 v47, v135, v127
	v_dot2c_f32_f16_e32 v22, v132, v128
	v_dot2c_f32_f16_e32 v23, v132, v129
	;; [unrolled: 1-line block ×16, first 2 shown]
	ds_read_b128 v[120:123], v89 offset:2560
	ds_read_b128 v[124:127], v90 offset:18944
	;; [unrolled: 1-line block ×4, first 2 shown]
	v_add_u32_e32 v108, s73, v108
	s_waitcnt lgkmcnt(2)
	v_dot2c_f32_f16_e32 v78, v120, v124
	v_dot2c_f32_f16_e32 v79, v120, v125
	v_dot2c_f32_f16_e32 v76, v120, v126
	v_dot2c_f32_f16_e32 v77, v120, v127
	v_dot2c_f32_f16_e32 v66, v121, v124
	v_dot2c_f32_f16_e32 v67, v121, v125
	v_dot2c_f32_f16_e32 v64, v121, v126
	v_dot2c_f32_f16_e32 v65, v121, v127
	v_dot2c_f32_f16_e32 v62, v122, v124
	v_dot2c_f32_f16_e32 v63, v122, v125
	v_dot2c_f32_f16_e32 v60, v122, v126
	v_dot2c_f32_f16_e32 v61, v122, v127
	v_dot2c_f32_f16_e32 v50, v123, v124
	v_dot2c_f32_f16_e32 v51, v123, v125
	v_dot2c_f32_f16_e32 v48, v123, v126
	v_dot2c_f32_f16_e32 v49, v123, v127
	s_waitcnt lgkmcnt(1)
	v_dot2c_f32_f16_e32 v74, v120, v128
	v_dot2c_f32_f16_e32 v75, v120, v129
	v_dot2c_f32_f16_e32 v72, v120, v130
	v_dot2c_f32_f16_e32 v73, v120, v131
	v_dot2c_f32_f16_e32 v70, v121, v128
	v_dot2c_f32_f16_e32 v71, v121, v129
	v_dot2c_f32_f16_e32 v68, v121, v130
	v_dot2c_f32_f16_e32 v69, v121, v131
	v_dot2c_f32_f16_e32 v58, v122, v128
	v_dot2c_f32_f16_e32 v59, v122, v129
	v_dot2c_f32_f16_e32 v56, v122, v130
	v_dot2c_f32_f16_e32 v57, v122, v131
	v_dot2c_f32_f16_e32 v54, v123, v128
	v_dot2c_f32_f16_e32 v55, v123, v129
	v_dot2c_f32_f16_e32 v52, v123, v130
	v_dot2c_f32_f16_e32 v53, v123, v131
	;; [unrolled: 17-line block ×3, first 2 shown]
	v_dot2c_f32_f16_e32 v22, v132, v128
	v_dot2c_f32_f16_e32 v23, v132, v129
	;; [unrolled: 1-line block ×16, first 2 shown]
	ds_read_b128 v[120:123], v89 offset:3072
	ds_read_b128 v[124:127], v90 offset:19456
	;; [unrolled: 1-line block ×4, first 2 shown]
	s_waitcnt lgkmcnt(2)
	v_dot2c_f32_f16_e32 v78, v120, v124
	v_dot2c_f32_f16_e32 v79, v120, v125
	v_dot2c_f32_f16_e32 v76, v120, v126
	v_dot2c_f32_f16_e32 v77, v120, v127
	v_dot2c_f32_f16_e32 v66, v121, v124
	v_dot2c_f32_f16_e32 v67, v121, v125
	v_dot2c_f32_f16_e32 v64, v121, v126
	v_dot2c_f32_f16_e32 v65, v121, v127
	v_dot2c_f32_f16_e32 v62, v122, v124
	v_dot2c_f32_f16_e32 v63, v122, v125
	v_dot2c_f32_f16_e32 v60, v122, v126
	v_dot2c_f32_f16_e32 v61, v122, v127
	v_dot2c_f32_f16_e32 v50, v123, v124
	v_dot2c_f32_f16_e32 v51, v123, v125
	v_dot2c_f32_f16_e32 v48, v123, v126
	v_dot2c_f32_f16_e32 v49, v123, v127
	s_waitcnt lgkmcnt(1)
	v_dot2c_f32_f16_e32 v74, v120, v128
	v_dot2c_f32_f16_e32 v75, v120, v129
	v_dot2c_f32_f16_e32 v72, v120, v130
	v_dot2c_f32_f16_e32 v73, v120, v131
	v_dot2c_f32_f16_e32 v70, v121, v128
	v_dot2c_f32_f16_e32 v71, v121, v129
	v_dot2c_f32_f16_e32 v68, v121, v130
	v_dot2c_f32_f16_e32 v69, v121, v131
	v_dot2c_f32_f16_e32 v58, v122, v128
	v_dot2c_f32_f16_e32 v59, v122, v129
	v_dot2c_f32_f16_e32 v56, v122, v130
	v_dot2c_f32_f16_e32 v57, v122, v131
	v_dot2c_f32_f16_e32 v54, v123, v128
	v_dot2c_f32_f16_e32 v55, v123, v129
	v_dot2c_f32_f16_e32 v52, v123, v130
	v_dot2c_f32_f16_e32 v53, v123, v131
	;; [unrolled: 17-line block ×3, first 2 shown]
	v_dot2c_f32_f16_e32 v22, v132, v128
	v_dot2c_f32_f16_e32 v23, v132, v129
	;; [unrolled: 1-line block ×16, first 2 shown]
	ds_read_b128 v[120:123], v89 offset:3584
	ds_read_b128 v[124:127], v90 offset:19968
	;; [unrolled: 1-line block ×4, first 2 shown]
	s_waitcnt lgkmcnt(2)
	v_dot2c_f32_f16_e32 v78, v120, v124
	v_dot2c_f32_f16_e32 v79, v120, v125
	v_dot2c_f32_f16_e32 v76, v120, v126
	v_dot2c_f32_f16_e32 v77, v120, v127
	v_dot2c_f32_f16_e32 v66, v121, v124
	v_dot2c_f32_f16_e32 v67, v121, v125
	v_dot2c_f32_f16_e32 v64, v121, v126
	v_dot2c_f32_f16_e32 v65, v121, v127
	v_dot2c_f32_f16_e32 v62, v122, v124
	v_dot2c_f32_f16_e32 v63, v122, v125
	v_dot2c_f32_f16_e32 v60, v122, v126
	v_dot2c_f32_f16_e32 v61, v122, v127
	v_dot2c_f32_f16_e32 v50, v123, v124
	v_dot2c_f32_f16_e32 v51, v123, v125
	v_dot2c_f32_f16_e32 v48, v123, v126
	v_dot2c_f32_f16_e32 v49, v123, v127
	s_waitcnt lgkmcnt(1)
	v_dot2c_f32_f16_e32 v74, v120, v128
	v_dot2c_f32_f16_e32 v75, v120, v129
	v_dot2c_f32_f16_e32 v72, v120, v130
	v_dot2c_f32_f16_e32 v73, v120, v131
	v_dot2c_f32_f16_e32 v70, v121, v128
	v_dot2c_f32_f16_e32 v71, v121, v129
	v_dot2c_f32_f16_e32 v68, v121, v130
	v_dot2c_f32_f16_e32 v69, v121, v131
	v_dot2c_f32_f16_e32 v58, v122, v128
	v_dot2c_f32_f16_e32 v59, v122, v129
	v_dot2c_f32_f16_e32 v56, v122, v130
	v_dot2c_f32_f16_e32 v57, v122, v131
	v_dot2c_f32_f16_e32 v54, v123, v128
	v_dot2c_f32_f16_e32 v55, v123, v129
	v_dot2c_f32_f16_e32 v52, v123, v130
	v_dot2c_f32_f16_e32 v53, v123, v131
	;; [unrolled: 17-line block ×3, first 2 shown]
	v_dot2c_f32_f16_e32 v22, v132, v128
	v_dot2c_f32_f16_e32 v23, v132, v129
	v_dot2c_f32_f16_e32 v20, v132, v130
	v_dot2c_f32_f16_e32 v21, v132, v131
	v_dot2c_f32_f16_e32 v26, v133, v128
	v_dot2c_f32_f16_e32 v27, v133, v129
	v_dot2c_f32_f16_e32 v24, v133, v130
	v_dot2c_f32_f16_e32 v25, v133, v131
	v_dot2c_f32_f16_e32 v38, v134, v128
	v_dot2c_f32_f16_e32 v39, v134, v129
	v_dot2c_f32_f16_e32 v36, v134, v130
	v_dot2c_f32_f16_e32 v37, v134, v131
	v_dot2c_f32_f16_e32 v44, v135, v128
	v_dot2c_f32_f16_e32 v45, v135, v129
	v_dot2c_f32_f16_e32 v42, v135, v130
	v_dot2c_f32_f16_e32 v43, v135, v131
	ds_read_b128 v[120:123], v89 offset:4096
	ds_read_b128 v[124:127], v90 offset:20480
	;; [unrolled: 1-line block ×4, first 2 shown]
	s_waitcnt lgkmcnt(2)
	v_dot2c_f32_f16_e32 v78, v120, v124
	v_dot2c_f32_f16_e32 v79, v120, v125
	v_dot2c_f32_f16_e32 v76, v120, v126
	v_dot2c_f32_f16_e32 v77, v120, v127
	v_dot2c_f32_f16_e32 v66, v121, v124
	v_dot2c_f32_f16_e32 v67, v121, v125
	v_dot2c_f32_f16_e32 v64, v121, v126
	v_dot2c_f32_f16_e32 v65, v121, v127
	v_dot2c_f32_f16_e32 v62, v122, v124
	v_dot2c_f32_f16_e32 v63, v122, v125
	v_dot2c_f32_f16_e32 v60, v122, v126
	v_dot2c_f32_f16_e32 v61, v122, v127
	v_dot2c_f32_f16_e32 v50, v123, v124
	v_dot2c_f32_f16_e32 v51, v123, v125
	v_dot2c_f32_f16_e32 v48, v123, v126
	v_dot2c_f32_f16_e32 v49, v123, v127
	s_waitcnt lgkmcnt(1)
	v_dot2c_f32_f16_e32 v74, v120, v128
	v_dot2c_f32_f16_e32 v75, v120, v129
	v_dot2c_f32_f16_e32 v72, v120, v130
	v_dot2c_f32_f16_e32 v73, v120, v131
	v_dot2c_f32_f16_e32 v70, v121, v128
	v_dot2c_f32_f16_e32 v71, v121, v129
	v_dot2c_f32_f16_e32 v68, v121, v130
	v_dot2c_f32_f16_e32 v69, v121, v131
	v_dot2c_f32_f16_e32 v58, v122, v128
	v_dot2c_f32_f16_e32 v59, v122, v129
	v_dot2c_f32_f16_e32 v56, v122, v130
	v_dot2c_f32_f16_e32 v57, v122, v131
	v_dot2c_f32_f16_e32 v54, v123, v128
	v_dot2c_f32_f16_e32 v55, v123, v129
	v_dot2c_f32_f16_e32 v52, v123, v130
	v_dot2c_f32_f16_e32 v53, v123, v131
	;; [unrolled: 17-line block ×3, first 2 shown]
	v_dot2c_f32_f16_e32 v22, v132, v128
	v_dot2c_f32_f16_e32 v23, v132, v129
	;; [unrolled: 1-line block ×16, first 2 shown]
	ds_read_b128 v[120:123], v89 offset:4608
	ds_read_b128 v[124:127], v90 offset:20992
	;; [unrolled: 1-line block ×4, first 2 shown]
	s_waitcnt lgkmcnt(2)
	v_dot2c_f32_f16_e32 v78, v120, v124
	v_dot2c_f32_f16_e32 v79, v120, v125
	v_dot2c_f32_f16_e32 v76, v120, v126
	v_dot2c_f32_f16_e32 v77, v120, v127
	v_dot2c_f32_f16_e32 v66, v121, v124
	v_dot2c_f32_f16_e32 v67, v121, v125
	v_dot2c_f32_f16_e32 v64, v121, v126
	v_dot2c_f32_f16_e32 v65, v121, v127
	v_dot2c_f32_f16_e32 v62, v122, v124
	v_dot2c_f32_f16_e32 v63, v122, v125
	v_dot2c_f32_f16_e32 v60, v122, v126
	v_dot2c_f32_f16_e32 v61, v122, v127
	v_dot2c_f32_f16_e32 v50, v123, v124
	v_dot2c_f32_f16_e32 v51, v123, v125
	v_dot2c_f32_f16_e32 v48, v123, v126
	v_dot2c_f32_f16_e32 v49, v123, v127
	s_waitcnt lgkmcnt(1)
	v_dot2c_f32_f16_e32 v74, v120, v128
	v_dot2c_f32_f16_e32 v75, v120, v129
	v_dot2c_f32_f16_e32 v72, v120, v130
	v_dot2c_f32_f16_e32 v73, v120, v131
	v_dot2c_f32_f16_e32 v70, v121, v128
	v_dot2c_f32_f16_e32 v71, v121, v129
	v_dot2c_f32_f16_e32 v68, v121, v130
	v_dot2c_f32_f16_e32 v69, v121, v131
	v_dot2c_f32_f16_e32 v58, v122, v128
	v_dot2c_f32_f16_e32 v59, v122, v129
	v_dot2c_f32_f16_e32 v56, v122, v130
	v_dot2c_f32_f16_e32 v57, v122, v131
	v_dot2c_f32_f16_e32 v54, v123, v128
	v_dot2c_f32_f16_e32 v55, v123, v129
	v_dot2c_f32_f16_e32 v52, v123, v130
	v_dot2c_f32_f16_e32 v53, v123, v131
	;; [unrolled: 17-line block ×3, first 2 shown]
	v_dot2c_f32_f16_e32 v22, v132, v128
	v_dot2c_f32_f16_e32 v23, v132, v129
	;; [unrolled: 1-line block ×16, first 2 shown]
	ds_read_b128 v[120:123], v89 offset:5120
	ds_read_b128 v[124:127], v90 offset:21504
	;; [unrolled: 1-line block ×4, first 2 shown]
	s_waitcnt lgkmcnt(2)
	v_dot2c_f32_f16_e32 v78, v120, v124
	v_dot2c_f32_f16_e32 v79, v120, v125
	v_dot2c_f32_f16_e32 v76, v120, v126
	v_dot2c_f32_f16_e32 v77, v120, v127
	v_dot2c_f32_f16_e32 v66, v121, v124
	v_dot2c_f32_f16_e32 v67, v121, v125
	v_dot2c_f32_f16_e32 v64, v121, v126
	v_dot2c_f32_f16_e32 v65, v121, v127
	v_dot2c_f32_f16_e32 v62, v122, v124
	v_dot2c_f32_f16_e32 v63, v122, v125
	v_dot2c_f32_f16_e32 v60, v122, v126
	v_dot2c_f32_f16_e32 v61, v122, v127
	v_dot2c_f32_f16_e32 v50, v123, v124
	v_dot2c_f32_f16_e32 v51, v123, v125
	v_dot2c_f32_f16_e32 v48, v123, v126
	v_dot2c_f32_f16_e32 v49, v123, v127
	s_waitcnt lgkmcnt(1)
	v_dot2c_f32_f16_e32 v74, v120, v128
	v_dot2c_f32_f16_e32 v75, v120, v129
	v_dot2c_f32_f16_e32 v72, v120, v130
	v_dot2c_f32_f16_e32 v73, v120, v131
	v_dot2c_f32_f16_e32 v70, v121, v128
	v_dot2c_f32_f16_e32 v71, v121, v129
	v_dot2c_f32_f16_e32 v68, v121, v130
	v_dot2c_f32_f16_e32 v69, v121, v131
	v_dot2c_f32_f16_e32 v58, v122, v128
	v_dot2c_f32_f16_e32 v59, v122, v129
	v_dot2c_f32_f16_e32 v56, v122, v130
	v_dot2c_f32_f16_e32 v57, v122, v131
	v_dot2c_f32_f16_e32 v54, v123, v128
	v_dot2c_f32_f16_e32 v55, v123, v129
	v_dot2c_f32_f16_e32 v52, v123, v130
	v_dot2c_f32_f16_e32 v53, v123, v131
	;; [unrolled: 17-line block ×3, first 2 shown]
	v_dot2c_f32_f16_e32 v22, v132, v128
	v_dot2c_f32_f16_e32 v23, v132, v129
	;; [unrolled: 1-line block ×16, first 2 shown]
	ds_read_b128 v[120:123], v89 offset:5632
	ds_read_b128 v[124:127], v90 offset:22016
	;; [unrolled: 1-line block ×4, first 2 shown]
	s_waitcnt lgkmcnt(2)
	v_dot2c_f32_f16_e32 v78, v120, v124
	v_dot2c_f32_f16_e32 v79, v120, v125
	v_dot2c_f32_f16_e32 v76, v120, v126
	v_dot2c_f32_f16_e32 v77, v120, v127
	v_dot2c_f32_f16_e32 v66, v121, v124
	v_dot2c_f32_f16_e32 v67, v121, v125
	v_dot2c_f32_f16_e32 v64, v121, v126
	v_dot2c_f32_f16_e32 v65, v121, v127
	v_dot2c_f32_f16_e32 v62, v122, v124
	v_dot2c_f32_f16_e32 v63, v122, v125
	v_dot2c_f32_f16_e32 v60, v122, v126
	v_dot2c_f32_f16_e32 v61, v122, v127
	v_dot2c_f32_f16_e32 v50, v123, v124
	v_dot2c_f32_f16_e32 v51, v123, v125
	v_dot2c_f32_f16_e32 v48, v123, v126
	v_dot2c_f32_f16_e32 v49, v123, v127
	s_waitcnt lgkmcnt(1)
	v_dot2c_f32_f16_e32 v74, v120, v128
	v_dot2c_f32_f16_e32 v75, v120, v129
	v_dot2c_f32_f16_e32 v72, v120, v130
	v_dot2c_f32_f16_e32 v73, v120, v131
	v_dot2c_f32_f16_e32 v70, v121, v128
	v_dot2c_f32_f16_e32 v71, v121, v129
	v_dot2c_f32_f16_e32 v68, v121, v130
	v_dot2c_f32_f16_e32 v69, v121, v131
	v_dot2c_f32_f16_e32 v58, v122, v128
	v_dot2c_f32_f16_e32 v59, v122, v129
	v_dot2c_f32_f16_e32 v56, v122, v130
	v_dot2c_f32_f16_e32 v57, v122, v131
	v_dot2c_f32_f16_e32 v54, v123, v128
	v_dot2c_f32_f16_e32 v55, v123, v129
	v_dot2c_f32_f16_e32 v52, v123, v130
	v_dot2c_f32_f16_e32 v53, v123, v131
	;; [unrolled: 17-line block ×3, first 2 shown]
	v_dot2c_f32_f16_e32 v22, v132, v128
	v_dot2c_f32_f16_e32 v23, v132, v129
	;; [unrolled: 1-line block ×16, first 2 shown]
	ds_read_b128 v[120:123], v89 offset:6144
	ds_read_b128 v[124:127], v90 offset:22528
	;; [unrolled: 1-line block ×4, first 2 shown]
	s_waitcnt lgkmcnt(2)
	v_dot2c_f32_f16_e32 v78, v120, v124
	v_dot2c_f32_f16_e32 v79, v120, v125
	v_dot2c_f32_f16_e32 v76, v120, v126
	v_dot2c_f32_f16_e32 v77, v120, v127
	v_dot2c_f32_f16_e32 v66, v121, v124
	v_dot2c_f32_f16_e32 v67, v121, v125
	v_dot2c_f32_f16_e32 v64, v121, v126
	v_dot2c_f32_f16_e32 v65, v121, v127
	v_dot2c_f32_f16_e32 v62, v122, v124
	v_dot2c_f32_f16_e32 v63, v122, v125
	v_dot2c_f32_f16_e32 v60, v122, v126
	v_dot2c_f32_f16_e32 v61, v122, v127
	v_dot2c_f32_f16_e32 v50, v123, v124
	v_dot2c_f32_f16_e32 v51, v123, v125
	v_dot2c_f32_f16_e32 v48, v123, v126
	v_dot2c_f32_f16_e32 v49, v123, v127
	s_waitcnt lgkmcnt(1)
	v_dot2c_f32_f16_e32 v74, v120, v128
	v_dot2c_f32_f16_e32 v75, v120, v129
	v_dot2c_f32_f16_e32 v72, v120, v130
	v_dot2c_f32_f16_e32 v73, v120, v131
	v_dot2c_f32_f16_e32 v70, v121, v128
	v_dot2c_f32_f16_e32 v71, v121, v129
	v_dot2c_f32_f16_e32 v68, v121, v130
	v_dot2c_f32_f16_e32 v69, v121, v131
	v_dot2c_f32_f16_e32 v58, v122, v128
	v_dot2c_f32_f16_e32 v59, v122, v129
	v_dot2c_f32_f16_e32 v56, v122, v130
	v_dot2c_f32_f16_e32 v57, v122, v131
	v_dot2c_f32_f16_e32 v54, v123, v128
	v_dot2c_f32_f16_e32 v55, v123, v129
	v_dot2c_f32_f16_e32 v52, v123, v130
	v_dot2c_f32_f16_e32 v53, v123, v131
	;; [unrolled: 17-line block ×3, first 2 shown]
	v_dot2c_f32_f16_e32 v22, v132, v128
	v_dot2c_f32_f16_e32 v23, v132, v129
	;; [unrolled: 1-line block ×16, first 2 shown]
	ds_read_b128 v[120:123], v89 offset:6656
	ds_read_b128 v[124:127], v90 offset:23040
	ds_read_b128 v[128:131], v90 offset:23296
	ds_read_b128 v[132:135], v89 offset:6912
	s_waitcnt lgkmcnt(2)
	v_dot2c_f32_f16_e32 v78, v120, v124
	v_dot2c_f32_f16_e32 v79, v120, v125
	v_dot2c_f32_f16_e32 v76, v120, v126
	v_dot2c_f32_f16_e32 v77, v120, v127
	v_dot2c_f32_f16_e32 v66, v121, v124
	v_dot2c_f32_f16_e32 v67, v121, v125
	v_dot2c_f32_f16_e32 v64, v121, v126
	v_dot2c_f32_f16_e32 v65, v121, v127
	v_dot2c_f32_f16_e32 v62, v122, v124
	v_dot2c_f32_f16_e32 v63, v122, v125
	v_dot2c_f32_f16_e32 v60, v122, v126
	v_dot2c_f32_f16_e32 v61, v122, v127
	v_dot2c_f32_f16_e32 v50, v123, v124
	v_dot2c_f32_f16_e32 v51, v123, v125
	v_dot2c_f32_f16_e32 v48, v123, v126
	v_dot2c_f32_f16_e32 v49, v123, v127
	s_waitcnt lgkmcnt(1)
	v_dot2c_f32_f16_e32 v74, v120, v128
	v_dot2c_f32_f16_e32 v75, v120, v129
	v_dot2c_f32_f16_e32 v72, v120, v130
	v_dot2c_f32_f16_e32 v73, v120, v131
	v_dot2c_f32_f16_e32 v70, v121, v128
	v_dot2c_f32_f16_e32 v71, v121, v129
	v_dot2c_f32_f16_e32 v68, v121, v130
	v_dot2c_f32_f16_e32 v69, v121, v131
	v_dot2c_f32_f16_e32 v58, v122, v128
	v_dot2c_f32_f16_e32 v59, v122, v129
	v_dot2c_f32_f16_e32 v56, v122, v130
	v_dot2c_f32_f16_e32 v57, v122, v131
	v_dot2c_f32_f16_e32 v54, v123, v128
	v_dot2c_f32_f16_e32 v55, v123, v129
	v_dot2c_f32_f16_e32 v52, v123, v130
	v_dot2c_f32_f16_e32 v53, v123, v131
	;; [unrolled: 17-line block ×3, first 2 shown]
	v_dot2c_f32_f16_e32 v22, v132, v128
	v_dot2c_f32_f16_e32 v23, v132, v129
	;; [unrolled: 1-line block ×16, first 2 shown]
	ds_read_b128 v[120:123], v89 offset:7168
	ds_read_b128 v[124:127], v90 offset:23552
	ds_read_b128 v[128:131], v90 offset:23808
	ds_read_b128 v[132:135], v89 offset:7424
	s_waitcnt lgkmcnt(2)
	v_dot2c_f32_f16_e32 v78, v120, v124
	v_dot2c_f32_f16_e32 v79, v120, v125
	v_dot2c_f32_f16_e32 v76, v120, v126
	v_dot2c_f32_f16_e32 v77, v120, v127
	v_dot2c_f32_f16_e32 v66, v121, v124
	v_dot2c_f32_f16_e32 v67, v121, v125
	v_dot2c_f32_f16_e32 v64, v121, v126
	v_dot2c_f32_f16_e32 v65, v121, v127
	v_dot2c_f32_f16_e32 v62, v122, v124
	v_dot2c_f32_f16_e32 v63, v122, v125
	v_dot2c_f32_f16_e32 v60, v122, v126
	v_dot2c_f32_f16_e32 v61, v122, v127
	v_dot2c_f32_f16_e32 v50, v123, v124
	v_dot2c_f32_f16_e32 v51, v123, v125
	v_dot2c_f32_f16_e32 v48, v123, v126
	v_dot2c_f32_f16_e32 v49, v123, v127
	s_waitcnt lgkmcnt(1)
	v_dot2c_f32_f16_e32 v74, v120, v128
	v_dot2c_f32_f16_e32 v75, v120, v129
	v_dot2c_f32_f16_e32 v72, v120, v130
	v_dot2c_f32_f16_e32 v73, v120, v131
	v_dot2c_f32_f16_e32 v70, v121, v128
	v_dot2c_f32_f16_e32 v71, v121, v129
	v_dot2c_f32_f16_e32 v68, v121, v130
	v_dot2c_f32_f16_e32 v69, v121, v131
	v_dot2c_f32_f16_e32 v58, v122, v128
	v_dot2c_f32_f16_e32 v59, v122, v129
	v_dot2c_f32_f16_e32 v56, v122, v130
	v_dot2c_f32_f16_e32 v57, v122, v131
	v_dot2c_f32_f16_e32 v54, v123, v128
	v_dot2c_f32_f16_e32 v55, v123, v129
	v_dot2c_f32_f16_e32 v52, v123, v130
	v_dot2c_f32_f16_e32 v53, v123, v131
	;; [unrolled: 17-line block ×3, first 2 shown]
	v_dot2c_f32_f16_e32 v22, v132, v128
	v_dot2c_f32_f16_e32 v23, v132, v129
	;; [unrolled: 1-line block ×16, first 2 shown]
	ds_read_b128 v[120:123], v89 offset:7680
	ds_read_b128 v[124:127], v90 offset:24064
	;; [unrolled: 1-line block ×4, first 2 shown]
	s_waitcnt lgkmcnt(2)
	v_dot2c_f32_f16_e32 v78, v120, v124
	v_dot2c_f32_f16_e32 v79, v120, v125
	;; [unrolled: 1-line block ×4, first 2 shown]
	s_waitcnt lgkmcnt(1)
	v_dot2c_f32_f16_e32 v74, v120, v128
	v_dot2c_f32_f16_e32 v75, v120, v129
	;; [unrolled: 1-line block ×4, first 2 shown]
	v_mul_hi_u32 v120, s53, v107
	v_add_u32_e32 v120, v84, v120
	v_dot2c_f32_f16_e32 v62, v122, v124
	v_dot2c_f32_f16_e32 v63, v122, v125
	;; [unrolled: 1-line block ×8, first 2 shown]
	v_lshrrev_b32_e32 v122, s38, v120
	v_dot2c_f32_f16_e32 v66, v121, v124
	v_dot2c_f32_f16_e32 v67, v121, v125
	;; [unrolled: 1-line block ×8, first 2 shown]
	v_mad_u64_u32 v[120:121], s[4:5], s74, v122, v[84:85]
	v_sub_u32_e32 v86, v120, v86
	v_add_u32_e32 v120, s75, v95
	v_cmp_gt_i32_e64 s[4:5], s59, v120
	s_and_b64 s[4:5], s[2:3], s[4:5]
	v_add_u32_e32 v120, s75, v94
	s_waitcnt vmcnt(3)
	v_cndmask_b32_e64 v15, 0, v15, s[4:5]
	v_cndmask_b32_e64 v14, 0, v14, s[4:5]
	;; [unrolled: 1-line block ×4, first 2 shown]
	v_cmp_gt_i32_e64 s[4:5], s59, v120
	s_and_b64 s[4:5], s[2:3], s[4:5]
	v_dot2c_f32_f16_e32 v50, v123, v124
	s_waitcnt vmcnt(2)
	v_cndmask_b32_e64 v11, 0, v11, s[4:5]
	v_cndmask_b32_e64 v10, 0, v10, s[4:5]
	v_cndmask_b32_e64 v9, 0, v9, s[4:5]
	v_cndmask_b32_e64 v8, 0, v8, s[4:5]
	v_cmp_gt_i32_e64 s[4:5], s55, v114
	s_and_b64 s[10:11], s[8:9], s[4:5]
	v_cmp_le_i32_e64 s[4:5], s69, v82
	v_cmp_gt_i32_e64 s[8:9], s50, v82
	s_and_b64 s[10:11], s[10:11], s[6:7]
	s_and_b64 s[8:9], s[4:5], s[8:9]
	v_cmp_le_i32_e64 s[4:5], s70, v83
	v_cmp_gt_i32_e64 s[6:7], s48, v83
	s_and_b64 s[4:5], s[4:5], s[6:7]
	s_and_b64 s[4:5], s[10:11], s[4:5]
	;; [unrolled: 1-line block ×3, first 2 shown]
	s_and_b64 s[4:5], vcc, s[4:5]
	s_waitcnt vmcnt(1)
	v_cndmask_b32_e64 v7, 0, v7, s[4:5]
	v_cndmask_b32_e64 v6, 0, v6, s[4:5]
	;; [unrolled: 1-line block ×4, first 2 shown]
	v_cmp_gt_i32_e64 s[4:5], s55, v80
	v_mul_hi_u32 v80, s52, v122
	v_add_u32_e32 v80, v122, v80
	v_lshrrev_b32_e32 v118, s37, v80
	v_mul_lo_u32 v81, v118, s29
	v_sub_u32_e32 v83, v122, v81
	v_mul_hi_u32 v81, v118, s64
	v_add_u32_e32 v81, v118, v81
	v_mul_lo_u32 v80, v86, s68
	v_lshrrev_b32_e32 v86, s36, v81
	v_add_u32_e32 v114, v117, v82
	v_sub_u32_e32 v82, v83, v116
	v_sub_u32_e32 v81, v86, v87
	v_mul_lo_u32 v117, v82, s60
	v_mul_lo_u32 v116, v81, s54
	;; [unrolled: 1-line block ×4, first 2 shown]
	v_add3_u32 v119, v81, v80, v82
	v_mul_hi_u32 v80, s53, v106
	v_add_u32_e32 v82, s58, v102
	v_add_u32_e32 v80, v82, v80
	v_lshrrev_b32_e32 v80, s38, v80
	v_mul_hi_u32 v81, s52, v80
	v_add_u32_e32 v81, v80, v81
	v_lshrrev_b32_e32 v120, s37, v81
	v_mul_lo_u32 v81, v80, s57
	v_mul_lo_u32 v87, v122, s30
	v_sub_u32_e32 v81, v82, v81
	v_cmp_gt_i32_e64 s[8:9], s19, v115
	v_add3_u32 v87, v81, v87, v105
	v_cmp_le_i32_e64 s[6:7], s51, v115
	s_and_b64 s[10:11], s[8:9], s[4:5]
	v_cmp_le_i32_e64 s[4:5], s69, v114
	v_cmp_gt_i32_e64 s[8:9], s50, v114
	v_mul_lo_u32 v121, v87, s68
	v_mul_hi_u32 v87, v120, s64
	s_and_b64 s[10:11], s[10:11], s[6:7]
	s_and_b64 s[8:9], s[4:5], s[8:9]
	v_cmp_le_i32_e64 s[4:5], s70, v113
	v_cmp_gt_i32_e64 s[6:7], s48, v113
	v_add_u32_e32 v87, v120, v87
	v_mul_lo_u32 v110, v120, s56
	s_and_b64 s[4:5], s[4:5], s[6:7]
	v_sub_u32_e32 v80, v80, v110
	v_lshrrev_b32_e32 v110, s36, v87
	s_and_b64 s[4:5], s[10:11], s[4:5]
	v_sub_u32_e32 v87, v110, v86
	v_mul_lo_u32 v86, v86, s28
	s_and_b64 s[4:5], s[8:9], s[4:5]
	v_sub_u32_e32 v86, v118, v86
	s_and_b64 s[4:5], vcc, s[4:5]
	v_sub_u32_e32 v111, v86, v111
	s_waitcnt vmcnt(0)
	v_cndmask_b32_e64 v0, 0, v0, s[4:5]
	v_mul_lo_u32 v118, v111, s61
	v_cndmask_b32_e64 v3, 0, v3, s[4:5]
	v_cndmask_b32_e64 v2, 0, v2, s[4:5]
	;; [unrolled: 1-line block ×3, first 2 shown]
	v_sub_u32_e32 v83, v80, v83
	v_mul_lo_u32 v111, v118, s26
	ds_write2st64_b32 v91, v12, v13 offset0:96 offset1:98
	ds_write2st64_b32 v91, v14, v15 offset0:100 offset1:102
	;; [unrolled: 1-line block ×8, first 2 shown]
	v_mul_lo_u32 v0, v110, s28
	v_mul_lo_u32 v83, v83, s60
	v_add3_u32 v119, v119, v111, v112
	v_sub_u32_e32 v111, v120, v0
	v_dot2c_f32_f16_e32 v51, v123, v125
	v_dot2c_f32_f16_e32 v48, v123, v126
	;; [unrolled: 1-line block ×7, first 2 shown]
	v_mul_lo_u32 v122, v87, s62
	v_mul_lo_u32 v123, v83, s27
	v_sub_u32_e32 v112, v111, v86
	v_add3_u32 v121, v123, v121, v122
	v_mul_lo_u32 v0, v112, s65
	v_add3_u32 v86, v121, v0, v119
	v_lshlrev_b32_e32 v0, 1, v119
	v_add_u32_e32 v1, v98, v97
	v_add_u32_e32 v2, v96, v97
	v_lshlrev_b32_e32 v3, 1, v86
	s_waitcnt lgkmcnt(8)
	v_dot2c_f32_f16_e32 v18, v132, v124
	v_dot2c_f32_f16_e32 v19, v132, v125
	;; [unrolled: 1-line block ×32, first 2 shown]
	buffer_load_dwordx4 v[12:15], v1, s[44:47], 0 offen
	buffer_load_dwordx4 v[8:11], v2, s[44:47], 0 offen
	;; [unrolled: 1-line block ×3, first 2 shown]
	s_nop 0
	buffer_load_dwordx4 v[0:3], v3, s[40:43], 0 offen
	s_waitcnt lgkmcnt(0)
	s_barrier
	ds_read_b128 v[120:123], v89 offset:8192
	ds_read_b128 v[124:127], v90 offset:24576
	;; [unrolled: 1-line block ×4, first 2 shown]
	v_add_u32_e32 v119, s75, v93
	v_cmp_gt_i32_e64 s[4:5], s59, v119
	s_waitcnt lgkmcnt(2)
	v_dot2c_f32_f16_e32 v78, v120, v124
	v_dot2c_f32_f16_e32 v79, v120, v125
	v_dot2c_f32_f16_e32 v76, v120, v126
	v_dot2c_f32_f16_e32 v77, v120, v127
	v_dot2c_f32_f16_e32 v66, v121, v124
	v_dot2c_f32_f16_e32 v67, v121, v125
	v_dot2c_f32_f16_e32 v64, v121, v126
	v_dot2c_f32_f16_e32 v65, v121, v127
	v_dot2c_f32_f16_e32 v62, v122, v124
	v_dot2c_f32_f16_e32 v63, v122, v125
	v_dot2c_f32_f16_e32 v60, v122, v126
	v_dot2c_f32_f16_e32 v61, v122, v127
	v_dot2c_f32_f16_e32 v50, v123, v124
	v_dot2c_f32_f16_e32 v51, v123, v125
	v_dot2c_f32_f16_e32 v48, v123, v126
	v_dot2c_f32_f16_e32 v49, v123, v127
	s_waitcnt lgkmcnt(1)
	v_dot2c_f32_f16_e32 v74, v120, v128
	v_dot2c_f32_f16_e32 v75, v120, v129
	v_dot2c_f32_f16_e32 v72, v120, v130
	v_dot2c_f32_f16_e32 v73, v120, v131
	v_dot2c_f32_f16_e32 v70, v121, v128
	v_dot2c_f32_f16_e32 v71, v121, v129
	v_dot2c_f32_f16_e32 v68, v121, v130
	v_dot2c_f32_f16_e32 v69, v121, v131
	v_dot2c_f32_f16_e32 v58, v122, v128
	v_dot2c_f32_f16_e32 v59, v122, v129
	v_dot2c_f32_f16_e32 v56, v122, v130
	v_dot2c_f32_f16_e32 v57, v122, v131
	v_dot2c_f32_f16_e32 v54, v123, v128
	v_dot2c_f32_f16_e32 v55, v123, v129
	v_dot2c_f32_f16_e32 v52, v123, v130
	v_dot2c_f32_f16_e32 v53, v123, v131
	;; [unrolled: 17-line block ×3, first 2 shown]
	v_dot2c_f32_f16_e32 v22, v132, v128
	v_dot2c_f32_f16_e32 v23, v132, v129
	;; [unrolled: 1-line block ×16, first 2 shown]
	ds_read_b128 v[120:123], v89 offset:8704
	ds_read_b128 v[124:127], v90 offset:25088
	;; [unrolled: 1-line block ×4, first 2 shown]
	s_and_b64 s[4:5], s[2:3], s[4:5]
	v_add_u32_e32 v119, s75, v92
	s_waitcnt lgkmcnt(2)
	v_dot2c_f32_f16_e32 v78, v120, v124
	v_dot2c_f32_f16_e32 v79, v120, v125
	v_dot2c_f32_f16_e32 v76, v120, v126
	v_dot2c_f32_f16_e32 v77, v120, v127
	v_dot2c_f32_f16_e32 v66, v121, v124
	v_dot2c_f32_f16_e32 v67, v121, v125
	v_dot2c_f32_f16_e32 v64, v121, v126
	v_dot2c_f32_f16_e32 v65, v121, v127
	v_dot2c_f32_f16_e32 v62, v122, v124
	v_dot2c_f32_f16_e32 v63, v122, v125
	v_dot2c_f32_f16_e32 v60, v122, v126
	v_dot2c_f32_f16_e32 v61, v122, v127
	v_dot2c_f32_f16_e32 v50, v123, v124
	v_dot2c_f32_f16_e32 v51, v123, v125
	v_dot2c_f32_f16_e32 v48, v123, v126
	v_dot2c_f32_f16_e32 v49, v123, v127
	s_waitcnt lgkmcnt(1)
	v_dot2c_f32_f16_e32 v74, v120, v128
	v_dot2c_f32_f16_e32 v75, v120, v129
	v_dot2c_f32_f16_e32 v72, v120, v130
	v_dot2c_f32_f16_e32 v73, v120, v131
	v_dot2c_f32_f16_e32 v70, v121, v128
	v_dot2c_f32_f16_e32 v71, v121, v129
	v_dot2c_f32_f16_e32 v68, v121, v130
	v_dot2c_f32_f16_e32 v69, v121, v131
	v_dot2c_f32_f16_e32 v58, v122, v128
	v_dot2c_f32_f16_e32 v59, v122, v129
	v_dot2c_f32_f16_e32 v56, v122, v130
	v_dot2c_f32_f16_e32 v57, v122, v131
	v_dot2c_f32_f16_e32 v54, v123, v128
	v_dot2c_f32_f16_e32 v55, v123, v129
	v_dot2c_f32_f16_e32 v52, v123, v130
	v_dot2c_f32_f16_e32 v53, v123, v131
	;; [unrolled: 17-line block ×3, first 2 shown]
	v_dot2c_f32_f16_e32 v22, v132, v128
	v_dot2c_f32_f16_e32 v23, v132, v129
	;; [unrolled: 1-line block ×16, first 2 shown]
	ds_read_b128 v[120:123], v89 offset:9216
	ds_read_b128 v[124:127], v90 offset:25600
	;; [unrolled: 1-line block ×4, first 2 shown]
	s_waitcnt vmcnt(3)
	v_cndmask_b32_e64 v15, 0, v15, s[4:5]
	v_cndmask_b32_e64 v14, 0, v14, s[4:5]
	s_waitcnt lgkmcnt(2)
	v_dot2c_f32_f16_e32 v78, v120, v124
	v_dot2c_f32_f16_e32 v79, v120, v125
	v_dot2c_f32_f16_e32 v76, v120, v126
	v_dot2c_f32_f16_e32 v77, v120, v127
	v_dot2c_f32_f16_e32 v66, v121, v124
	v_dot2c_f32_f16_e32 v67, v121, v125
	v_dot2c_f32_f16_e32 v64, v121, v126
	v_dot2c_f32_f16_e32 v65, v121, v127
	v_dot2c_f32_f16_e32 v62, v122, v124
	v_dot2c_f32_f16_e32 v63, v122, v125
	v_dot2c_f32_f16_e32 v60, v122, v126
	v_dot2c_f32_f16_e32 v61, v122, v127
	v_dot2c_f32_f16_e32 v50, v123, v124
	v_dot2c_f32_f16_e32 v51, v123, v125
	v_dot2c_f32_f16_e32 v48, v123, v126
	v_dot2c_f32_f16_e32 v49, v123, v127
	s_waitcnt lgkmcnt(1)
	v_dot2c_f32_f16_e32 v74, v120, v128
	v_dot2c_f32_f16_e32 v75, v120, v129
	v_dot2c_f32_f16_e32 v72, v120, v130
	v_dot2c_f32_f16_e32 v73, v120, v131
	v_dot2c_f32_f16_e32 v70, v121, v128
	v_dot2c_f32_f16_e32 v71, v121, v129
	v_dot2c_f32_f16_e32 v68, v121, v130
	v_dot2c_f32_f16_e32 v69, v121, v131
	v_dot2c_f32_f16_e32 v58, v122, v128
	v_dot2c_f32_f16_e32 v59, v122, v129
	v_dot2c_f32_f16_e32 v56, v122, v130
	v_dot2c_f32_f16_e32 v57, v122, v131
	v_dot2c_f32_f16_e32 v54, v123, v128
	v_dot2c_f32_f16_e32 v55, v123, v129
	v_dot2c_f32_f16_e32 v52, v123, v130
	v_dot2c_f32_f16_e32 v53, v123, v131
	;; [unrolled: 17-line block ×3, first 2 shown]
	v_dot2c_f32_f16_e32 v22, v132, v128
	v_dot2c_f32_f16_e32 v23, v132, v129
	;; [unrolled: 1-line block ×16, first 2 shown]
	ds_read_b128 v[120:123], v89 offset:9728
	ds_read_b128 v[124:127], v90 offset:26112
	;; [unrolled: 1-line block ×4, first 2 shown]
	v_cndmask_b32_e64 v13, 0, v13, s[4:5]
	v_cndmask_b32_e64 v12, 0, v12, s[4:5]
	s_waitcnt lgkmcnt(2)
	v_dot2c_f32_f16_e32 v78, v120, v124
	v_dot2c_f32_f16_e32 v79, v120, v125
	v_dot2c_f32_f16_e32 v76, v120, v126
	v_dot2c_f32_f16_e32 v77, v120, v127
	v_dot2c_f32_f16_e32 v66, v121, v124
	v_dot2c_f32_f16_e32 v67, v121, v125
	v_dot2c_f32_f16_e32 v64, v121, v126
	v_dot2c_f32_f16_e32 v65, v121, v127
	v_dot2c_f32_f16_e32 v62, v122, v124
	v_dot2c_f32_f16_e32 v63, v122, v125
	v_dot2c_f32_f16_e32 v60, v122, v126
	v_dot2c_f32_f16_e32 v61, v122, v127
	v_dot2c_f32_f16_e32 v50, v123, v124
	v_dot2c_f32_f16_e32 v51, v123, v125
	v_dot2c_f32_f16_e32 v48, v123, v126
	v_dot2c_f32_f16_e32 v49, v123, v127
	s_waitcnt lgkmcnt(1)
	v_dot2c_f32_f16_e32 v74, v120, v128
	v_dot2c_f32_f16_e32 v75, v120, v129
	v_dot2c_f32_f16_e32 v72, v120, v130
	v_dot2c_f32_f16_e32 v73, v120, v131
	v_dot2c_f32_f16_e32 v70, v121, v128
	v_dot2c_f32_f16_e32 v71, v121, v129
	v_dot2c_f32_f16_e32 v68, v121, v130
	v_dot2c_f32_f16_e32 v69, v121, v131
	v_dot2c_f32_f16_e32 v58, v122, v128
	v_dot2c_f32_f16_e32 v59, v122, v129
	v_dot2c_f32_f16_e32 v56, v122, v130
	v_dot2c_f32_f16_e32 v57, v122, v131
	v_dot2c_f32_f16_e32 v54, v123, v128
	v_dot2c_f32_f16_e32 v55, v123, v129
	v_dot2c_f32_f16_e32 v52, v123, v130
	v_dot2c_f32_f16_e32 v53, v123, v131
	;; [unrolled: 17-line block ×3, first 2 shown]
	v_dot2c_f32_f16_e32 v22, v132, v128
	v_dot2c_f32_f16_e32 v23, v132, v129
	v_dot2c_f32_f16_e32 v20, v132, v130
	v_dot2c_f32_f16_e32 v21, v132, v131
	v_dot2c_f32_f16_e32 v26, v133, v128
	v_dot2c_f32_f16_e32 v27, v133, v129
	v_dot2c_f32_f16_e32 v24, v133, v130
	v_dot2c_f32_f16_e32 v25, v133, v131
	v_dot2c_f32_f16_e32 v38, v134, v128
	v_dot2c_f32_f16_e32 v39, v134, v129
	v_dot2c_f32_f16_e32 v36, v134, v130
	v_dot2c_f32_f16_e32 v37, v134, v131
	v_dot2c_f32_f16_e32 v44, v135, v128
	v_dot2c_f32_f16_e32 v45, v135, v129
	v_dot2c_f32_f16_e32 v42, v135, v130
	v_dot2c_f32_f16_e32 v43, v135, v131
	ds_read_b128 v[120:123], v89 offset:10240
	ds_read_b128 v[124:127], v90 offset:26624
	;; [unrolled: 1-line block ×4, first 2 shown]
	v_cmp_gt_i32_e64 s[4:5], s59, v119
	s_and_b64 s[4:5], s[2:3], s[4:5]
	s_waitcnt lgkmcnt(2)
	v_dot2c_f32_f16_e32 v78, v120, v124
	v_dot2c_f32_f16_e32 v79, v120, v125
	v_dot2c_f32_f16_e32 v76, v120, v126
	v_dot2c_f32_f16_e32 v77, v120, v127
	v_dot2c_f32_f16_e32 v66, v121, v124
	v_dot2c_f32_f16_e32 v67, v121, v125
	v_dot2c_f32_f16_e32 v64, v121, v126
	v_dot2c_f32_f16_e32 v65, v121, v127
	v_dot2c_f32_f16_e32 v62, v122, v124
	v_dot2c_f32_f16_e32 v63, v122, v125
	v_dot2c_f32_f16_e32 v60, v122, v126
	v_dot2c_f32_f16_e32 v61, v122, v127
	v_dot2c_f32_f16_e32 v50, v123, v124
	v_dot2c_f32_f16_e32 v51, v123, v125
	v_dot2c_f32_f16_e32 v48, v123, v126
	v_dot2c_f32_f16_e32 v49, v123, v127
	s_waitcnt lgkmcnt(1)
	v_dot2c_f32_f16_e32 v74, v120, v128
	v_dot2c_f32_f16_e32 v75, v120, v129
	v_dot2c_f32_f16_e32 v72, v120, v130
	v_dot2c_f32_f16_e32 v73, v120, v131
	v_dot2c_f32_f16_e32 v70, v121, v128
	v_dot2c_f32_f16_e32 v71, v121, v129
	v_dot2c_f32_f16_e32 v68, v121, v130
	v_dot2c_f32_f16_e32 v69, v121, v131
	v_dot2c_f32_f16_e32 v58, v122, v128
	v_dot2c_f32_f16_e32 v59, v122, v129
	v_dot2c_f32_f16_e32 v56, v122, v130
	v_dot2c_f32_f16_e32 v57, v122, v131
	v_dot2c_f32_f16_e32 v54, v123, v128
	v_dot2c_f32_f16_e32 v55, v123, v129
	v_dot2c_f32_f16_e32 v52, v123, v130
	v_dot2c_f32_f16_e32 v53, v123, v131
	;; [unrolled: 17-line block ×3, first 2 shown]
	v_dot2c_f32_f16_e32 v22, v132, v128
	v_dot2c_f32_f16_e32 v23, v132, v129
	;; [unrolled: 1-line block ×16, first 2 shown]
	ds_read_b128 v[120:123], v89 offset:10752
	ds_read_b128 v[124:127], v90 offset:27136
	;; [unrolled: 1-line block ×4, first 2 shown]
	s_waitcnt vmcnt(2)
	v_cndmask_b32_e64 v11, 0, v11, s[4:5]
	v_cndmask_b32_e64 v119, 0, v10, s[4:5]
	s_waitcnt lgkmcnt(2)
	v_dot2c_f32_f16_e32 v78, v120, v124
	v_dot2c_f32_f16_e32 v79, v120, v125
	v_dot2c_f32_f16_e32 v76, v120, v126
	v_dot2c_f32_f16_e32 v77, v120, v127
	v_dot2c_f32_f16_e32 v66, v121, v124
	v_dot2c_f32_f16_e32 v67, v121, v125
	v_dot2c_f32_f16_e32 v64, v121, v126
	v_dot2c_f32_f16_e32 v65, v121, v127
	v_dot2c_f32_f16_e32 v62, v122, v124
	v_dot2c_f32_f16_e32 v63, v122, v125
	v_dot2c_f32_f16_e32 v60, v122, v126
	v_dot2c_f32_f16_e32 v61, v122, v127
	v_dot2c_f32_f16_e32 v50, v123, v124
	v_dot2c_f32_f16_e32 v51, v123, v125
	v_dot2c_f32_f16_e32 v48, v123, v126
	v_dot2c_f32_f16_e32 v49, v123, v127
	s_waitcnt lgkmcnt(1)
	v_dot2c_f32_f16_e32 v74, v120, v128
	v_dot2c_f32_f16_e32 v75, v120, v129
	v_dot2c_f32_f16_e32 v72, v120, v130
	v_dot2c_f32_f16_e32 v73, v120, v131
	v_dot2c_f32_f16_e32 v70, v121, v128
	v_dot2c_f32_f16_e32 v71, v121, v129
	v_dot2c_f32_f16_e32 v68, v121, v130
	v_dot2c_f32_f16_e32 v69, v121, v131
	v_dot2c_f32_f16_e32 v58, v122, v128
	v_dot2c_f32_f16_e32 v59, v122, v129
	v_dot2c_f32_f16_e32 v56, v122, v130
	v_dot2c_f32_f16_e32 v57, v122, v131
	v_dot2c_f32_f16_e32 v54, v123, v128
	v_dot2c_f32_f16_e32 v55, v123, v129
	v_dot2c_f32_f16_e32 v52, v123, v130
	v_dot2c_f32_f16_e32 v53, v123, v131
	;; [unrolled: 17-line block ×3, first 2 shown]
	v_dot2c_f32_f16_e32 v22, v132, v128
	v_dot2c_f32_f16_e32 v23, v132, v129
	;; [unrolled: 1-line block ×16, first 2 shown]
	ds_read_b128 v[120:123], v89 offset:11264
	ds_read_b128 v[124:127], v90 offset:27648
	ds_read_b128 v[128:131], v90 offset:27904
	ds_read_b128 v[132:135], v89 offset:11520
	v_cndmask_b32_e64 v9, 0, v9, s[4:5]
	v_add_u32_e32 v10, v118, v113
	s_waitcnt lgkmcnt(2)
	v_dot2c_f32_f16_e32 v78, v120, v124
	v_dot2c_f32_f16_e32 v79, v120, v125
	v_dot2c_f32_f16_e32 v76, v120, v126
	v_dot2c_f32_f16_e32 v77, v120, v127
	v_dot2c_f32_f16_e32 v66, v121, v124
	v_dot2c_f32_f16_e32 v67, v121, v125
	v_dot2c_f32_f16_e32 v64, v121, v126
	v_dot2c_f32_f16_e32 v65, v121, v127
	v_dot2c_f32_f16_e32 v62, v122, v124
	v_dot2c_f32_f16_e32 v63, v122, v125
	v_dot2c_f32_f16_e32 v60, v122, v126
	v_dot2c_f32_f16_e32 v61, v122, v127
	v_dot2c_f32_f16_e32 v50, v123, v124
	v_dot2c_f32_f16_e32 v51, v123, v125
	v_dot2c_f32_f16_e32 v48, v123, v126
	v_dot2c_f32_f16_e32 v49, v123, v127
	s_waitcnt lgkmcnt(1)
	v_dot2c_f32_f16_e32 v74, v120, v128
	v_dot2c_f32_f16_e32 v75, v120, v129
	v_dot2c_f32_f16_e32 v72, v120, v130
	v_dot2c_f32_f16_e32 v73, v120, v131
	v_dot2c_f32_f16_e32 v70, v121, v128
	v_dot2c_f32_f16_e32 v71, v121, v129
	v_dot2c_f32_f16_e32 v68, v121, v130
	v_dot2c_f32_f16_e32 v69, v121, v131
	v_dot2c_f32_f16_e32 v58, v122, v128
	v_dot2c_f32_f16_e32 v59, v122, v129
	v_dot2c_f32_f16_e32 v56, v122, v130
	v_dot2c_f32_f16_e32 v57, v122, v131
	v_dot2c_f32_f16_e32 v54, v123, v128
	v_dot2c_f32_f16_e32 v55, v123, v129
	v_dot2c_f32_f16_e32 v52, v123, v130
	v_dot2c_f32_f16_e32 v53, v123, v131
	;; [unrolled: 17-line block ×3, first 2 shown]
	v_dot2c_f32_f16_e32 v22, v132, v128
	v_dot2c_f32_f16_e32 v23, v132, v129
	;; [unrolled: 1-line block ×16, first 2 shown]
	ds_read_b128 v[120:123], v89 offset:11776
	ds_read_b128 v[124:127], v90 offset:28160
	;; [unrolled: 1-line block ×4, first 2 shown]
	s_add_i32 s75, s75, s66
	s_add_i32 s58, s58, s73
	s_waitcnt lgkmcnt(2)
	v_dot2c_f32_f16_e32 v78, v120, v124
	v_dot2c_f32_f16_e32 v79, v120, v125
	v_dot2c_f32_f16_e32 v76, v120, v126
	v_dot2c_f32_f16_e32 v77, v120, v127
	v_dot2c_f32_f16_e32 v66, v121, v124
	v_dot2c_f32_f16_e32 v67, v121, v125
	v_dot2c_f32_f16_e32 v64, v121, v126
	v_dot2c_f32_f16_e32 v65, v121, v127
	v_dot2c_f32_f16_e32 v62, v122, v124
	v_dot2c_f32_f16_e32 v63, v122, v125
	v_dot2c_f32_f16_e32 v60, v122, v126
	v_dot2c_f32_f16_e32 v61, v122, v127
	v_dot2c_f32_f16_e32 v50, v123, v124
	v_dot2c_f32_f16_e32 v51, v123, v125
	v_dot2c_f32_f16_e32 v48, v123, v126
	v_dot2c_f32_f16_e32 v49, v123, v127
	s_waitcnt lgkmcnt(1)
	v_dot2c_f32_f16_e32 v74, v120, v128
	v_dot2c_f32_f16_e32 v75, v120, v129
	v_dot2c_f32_f16_e32 v72, v120, v130
	v_dot2c_f32_f16_e32 v73, v120, v131
	v_dot2c_f32_f16_e32 v70, v121, v128
	v_dot2c_f32_f16_e32 v71, v121, v129
	v_dot2c_f32_f16_e32 v68, v121, v130
	v_dot2c_f32_f16_e32 v69, v121, v131
	v_dot2c_f32_f16_e32 v58, v122, v128
	v_dot2c_f32_f16_e32 v59, v122, v129
	v_dot2c_f32_f16_e32 v56, v122, v130
	v_dot2c_f32_f16_e32 v57, v122, v131
	v_dot2c_f32_f16_e32 v54, v123, v128
	v_dot2c_f32_f16_e32 v55, v123, v129
	v_dot2c_f32_f16_e32 v52, v123, v130
	v_dot2c_f32_f16_e32 v53, v123, v131
	;; [unrolled: 17-line block ×3, first 2 shown]
	v_dot2c_f32_f16_e32 v22, v132, v128
	v_dot2c_f32_f16_e32 v23, v132, v129
	;; [unrolled: 1-line block ×16, first 2 shown]
	ds_read_b128 v[120:123], v89 offset:12288
	ds_read_b128 v[124:127], v90 offset:28672
	;; [unrolled: 1-line block ×4, first 2 shown]
	v_add_u32_e32 v97, s67, v97
	v_add_u32_e32 v107, s73, v107
	s_waitcnt lgkmcnt(2)
	v_dot2c_f32_f16_e32 v78, v120, v124
	v_dot2c_f32_f16_e32 v79, v120, v125
	v_dot2c_f32_f16_e32 v76, v120, v126
	v_dot2c_f32_f16_e32 v77, v120, v127
	v_dot2c_f32_f16_e32 v66, v121, v124
	v_dot2c_f32_f16_e32 v67, v121, v125
	v_dot2c_f32_f16_e32 v64, v121, v126
	v_dot2c_f32_f16_e32 v65, v121, v127
	v_dot2c_f32_f16_e32 v62, v122, v124
	v_dot2c_f32_f16_e32 v63, v122, v125
	v_dot2c_f32_f16_e32 v60, v122, v126
	v_dot2c_f32_f16_e32 v61, v122, v127
	v_dot2c_f32_f16_e32 v50, v123, v124
	v_dot2c_f32_f16_e32 v51, v123, v125
	v_dot2c_f32_f16_e32 v48, v123, v126
	v_dot2c_f32_f16_e32 v49, v123, v127
	s_waitcnt lgkmcnt(1)
	v_dot2c_f32_f16_e32 v74, v120, v128
	v_dot2c_f32_f16_e32 v75, v120, v129
	v_dot2c_f32_f16_e32 v72, v120, v130
	v_dot2c_f32_f16_e32 v73, v120, v131
	v_dot2c_f32_f16_e32 v70, v121, v128
	v_dot2c_f32_f16_e32 v71, v121, v129
	v_dot2c_f32_f16_e32 v68, v121, v130
	v_dot2c_f32_f16_e32 v69, v121, v131
	v_dot2c_f32_f16_e32 v58, v122, v128
	v_dot2c_f32_f16_e32 v59, v122, v129
	v_dot2c_f32_f16_e32 v56, v122, v130
	v_dot2c_f32_f16_e32 v57, v122, v131
	v_dot2c_f32_f16_e32 v54, v123, v128
	v_dot2c_f32_f16_e32 v55, v123, v129
	v_dot2c_f32_f16_e32 v52, v123, v130
	v_dot2c_f32_f16_e32 v53, v123, v131
	;; [unrolled: 17-line block ×3, first 2 shown]
	v_dot2c_f32_f16_e32 v22, v132, v128
	v_dot2c_f32_f16_e32 v23, v132, v129
	;; [unrolled: 1-line block ×16, first 2 shown]
	ds_read_b128 v[120:123], v89 offset:12800
	ds_read_b128 v[124:127], v90 offset:29184
	;; [unrolled: 1-line block ×4, first 2 shown]
	v_add_u32_e32 v106, s73, v106
	v_subrev_u32_e32 v105, s73, v105
	s_waitcnt lgkmcnt(2)
	v_dot2c_f32_f16_e32 v78, v120, v124
	v_dot2c_f32_f16_e32 v79, v120, v125
	v_dot2c_f32_f16_e32 v76, v120, v126
	v_dot2c_f32_f16_e32 v77, v120, v127
	v_dot2c_f32_f16_e32 v66, v121, v124
	v_dot2c_f32_f16_e32 v67, v121, v125
	v_dot2c_f32_f16_e32 v64, v121, v126
	v_dot2c_f32_f16_e32 v65, v121, v127
	v_dot2c_f32_f16_e32 v62, v122, v124
	v_dot2c_f32_f16_e32 v63, v122, v125
	v_dot2c_f32_f16_e32 v60, v122, v126
	v_dot2c_f32_f16_e32 v61, v122, v127
	v_dot2c_f32_f16_e32 v50, v123, v124
	v_dot2c_f32_f16_e32 v51, v123, v125
	v_dot2c_f32_f16_e32 v48, v123, v126
	v_dot2c_f32_f16_e32 v49, v123, v127
	s_waitcnt lgkmcnt(1)
	v_dot2c_f32_f16_e32 v74, v120, v128
	v_dot2c_f32_f16_e32 v75, v120, v129
	v_dot2c_f32_f16_e32 v72, v120, v130
	v_dot2c_f32_f16_e32 v73, v120, v131
	v_dot2c_f32_f16_e32 v70, v121, v128
	v_dot2c_f32_f16_e32 v71, v121, v129
	v_dot2c_f32_f16_e32 v68, v121, v130
	v_dot2c_f32_f16_e32 v69, v121, v131
	v_dot2c_f32_f16_e32 v58, v122, v128
	v_dot2c_f32_f16_e32 v59, v122, v129
	v_dot2c_f32_f16_e32 v56, v122, v130
	v_dot2c_f32_f16_e32 v57, v122, v131
	v_dot2c_f32_f16_e32 v54, v123, v128
	v_dot2c_f32_f16_e32 v55, v123, v129
	v_dot2c_f32_f16_e32 v52, v123, v130
	v_dot2c_f32_f16_e32 v53, v123, v131
	s_waitcnt lgkmcnt(0)
	v_dot2c_f32_f16_e32 v18, v132, v124
	v_dot2c_f32_f16_e32 v19, v132, v125
	v_dot2c_f32_f16_e32 v16, v132, v126
	v_dot2c_f32_f16_e32 v17, v132, v127
	v_dot2c_f32_f16_e32 v30, v133, v124
	v_dot2c_f32_f16_e32 v31, v133, v125
	v_dot2c_f32_f16_e32 v28, v133, v126
	v_dot2c_f32_f16_e32 v29, v133, v127
	v_dot2c_f32_f16_e32 v34, v134, v124
	v_dot2c_f32_f16_e32 v35, v134, v125
	v_dot2c_f32_f16_e32 v32, v134, v126
	v_dot2c_f32_f16_e32 v33, v134, v127
	v_dot2c_f32_f16_e32 v40, v135, v124
	v_dot2c_f32_f16_e32 v41, v135, v125
	v_dot2c_f32_f16_e32 v46, v135, v126
	v_dot2c_f32_f16_e32 v47, v135, v127
	v_dot2c_f32_f16_e32 v22, v132, v128
	v_dot2c_f32_f16_e32 v23, v132, v129
	;; [unrolled: 1-line block ×16, first 2 shown]
	ds_read_b128 v[120:123], v89 offset:13312
	ds_read_b128 v[124:127], v90 offset:29696
	;; [unrolled: 1-line block ×4, first 2 shown]
	s_waitcnt lgkmcnt(2)
	v_dot2c_f32_f16_e32 v78, v120, v124
	v_dot2c_f32_f16_e32 v79, v120, v125
	v_dot2c_f32_f16_e32 v76, v120, v126
	v_dot2c_f32_f16_e32 v77, v120, v127
	v_dot2c_f32_f16_e32 v66, v121, v124
	v_dot2c_f32_f16_e32 v67, v121, v125
	v_dot2c_f32_f16_e32 v64, v121, v126
	v_dot2c_f32_f16_e32 v65, v121, v127
	v_dot2c_f32_f16_e32 v62, v122, v124
	v_dot2c_f32_f16_e32 v63, v122, v125
	v_dot2c_f32_f16_e32 v60, v122, v126
	v_dot2c_f32_f16_e32 v61, v122, v127
	v_dot2c_f32_f16_e32 v50, v123, v124
	v_dot2c_f32_f16_e32 v51, v123, v125
	v_dot2c_f32_f16_e32 v48, v123, v126
	v_dot2c_f32_f16_e32 v49, v123, v127
	s_waitcnt lgkmcnt(1)
	v_dot2c_f32_f16_e32 v74, v120, v128
	v_dot2c_f32_f16_e32 v75, v120, v129
	v_dot2c_f32_f16_e32 v72, v120, v130
	v_dot2c_f32_f16_e32 v73, v120, v131
	v_dot2c_f32_f16_e32 v70, v121, v128
	v_dot2c_f32_f16_e32 v71, v121, v129
	v_dot2c_f32_f16_e32 v68, v121, v130
	v_dot2c_f32_f16_e32 v69, v121, v131
	v_dot2c_f32_f16_e32 v58, v122, v128
	v_dot2c_f32_f16_e32 v59, v122, v129
	v_dot2c_f32_f16_e32 v56, v122, v130
	v_dot2c_f32_f16_e32 v57, v122, v131
	v_dot2c_f32_f16_e32 v54, v123, v128
	v_dot2c_f32_f16_e32 v55, v123, v129
	v_dot2c_f32_f16_e32 v52, v123, v130
	v_dot2c_f32_f16_e32 v53, v123, v131
	;; [unrolled: 17-line block ×3, first 2 shown]
	v_dot2c_f32_f16_e32 v22, v132, v128
	v_dot2c_f32_f16_e32 v23, v132, v129
	;; [unrolled: 1-line block ×16, first 2 shown]
	ds_read_b128 v[120:123], v89 offset:13824
	ds_read_b128 v[124:127], v90 offset:30208
	;; [unrolled: 1-line block ×4, first 2 shown]
	s_waitcnt lgkmcnt(2)
	v_dot2c_f32_f16_e32 v78, v120, v124
	v_dot2c_f32_f16_e32 v79, v120, v125
	v_dot2c_f32_f16_e32 v76, v120, v126
	v_dot2c_f32_f16_e32 v77, v120, v127
	v_dot2c_f32_f16_e32 v66, v121, v124
	v_dot2c_f32_f16_e32 v67, v121, v125
	v_dot2c_f32_f16_e32 v64, v121, v126
	v_dot2c_f32_f16_e32 v65, v121, v127
	v_dot2c_f32_f16_e32 v62, v122, v124
	v_dot2c_f32_f16_e32 v63, v122, v125
	v_dot2c_f32_f16_e32 v60, v122, v126
	v_dot2c_f32_f16_e32 v61, v122, v127
	v_dot2c_f32_f16_e32 v50, v123, v124
	v_dot2c_f32_f16_e32 v51, v123, v125
	v_dot2c_f32_f16_e32 v48, v123, v126
	v_dot2c_f32_f16_e32 v49, v123, v127
	s_waitcnt lgkmcnt(1)
	v_dot2c_f32_f16_e32 v74, v120, v128
	v_dot2c_f32_f16_e32 v75, v120, v129
	v_dot2c_f32_f16_e32 v72, v120, v130
	v_dot2c_f32_f16_e32 v73, v120, v131
	v_dot2c_f32_f16_e32 v70, v121, v128
	v_dot2c_f32_f16_e32 v71, v121, v129
	v_dot2c_f32_f16_e32 v68, v121, v130
	v_dot2c_f32_f16_e32 v69, v121, v131
	v_dot2c_f32_f16_e32 v58, v122, v128
	v_dot2c_f32_f16_e32 v59, v122, v129
	v_dot2c_f32_f16_e32 v56, v122, v130
	v_dot2c_f32_f16_e32 v57, v122, v131
	v_dot2c_f32_f16_e32 v54, v123, v128
	v_dot2c_f32_f16_e32 v55, v123, v129
	v_dot2c_f32_f16_e32 v52, v123, v130
	v_dot2c_f32_f16_e32 v53, v123, v131
	;; [unrolled: 17-line block ×3, first 2 shown]
	v_dot2c_f32_f16_e32 v22, v132, v128
	v_dot2c_f32_f16_e32 v23, v132, v129
	;; [unrolled: 1-line block ×16, first 2 shown]
	ds_read_b128 v[120:123], v89 offset:14336
	ds_read_b128 v[124:127], v90 offset:30720
	;; [unrolled: 1-line block ×4, first 2 shown]
	s_waitcnt lgkmcnt(2)
	v_dot2c_f32_f16_e32 v78, v120, v124
	v_dot2c_f32_f16_e32 v79, v120, v125
	v_dot2c_f32_f16_e32 v76, v120, v126
	v_dot2c_f32_f16_e32 v77, v120, v127
	v_dot2c_f32_f16_e32 v66, v121, v124
	v_dot2c_f32_f16_e32 v67, v121, v125
	v_dot2c_f32_f16_e32 v64, v121, v126
	v_dot2c_f32_f16_e32 v65, v121, v127
	v_dot2c_f32_f16_e32 v62, v122, v124
	v_dot2c_f32_f16_e32 v63, v122, v125
	v_dot2c_f32_f16_e32 v60, v122, v126
	v_dot2c_f32_f16_e32 v61, v122, v127
	v_dot2c_f32_f16_e32 v50, v123, v124
	v_dot2c_f32_f16_e32 v51, v123, v125
	v_dot2c_f32_f16_e32 v48, v123, v126
	v_dot2c_f32_f16_e32 v49, v123, v127
	s_waitcnt lgkmcnt(1)
	v_dot2c_f32_f16_e32 v74, v120, v128
	v_dot2c_f32_f16_e32 v75, v120, v129
	v_dot2c_f32_f16_e32 v72, v120, v130
	v_dot2c_f32_f16_e32 v73, v120, v131
	v_dot2c_f32_f16_e32 v70, v121, v128
	v_dot2c_f32_f16_e32 v71, v121, v129
	v_dot2c_f32_f16_e32 v68, v121, v130
	v_dot2c_f32_f16_e32 v69, v121, v131
	v_dot2c_f32_f16_e32 v58, v122, v128
	v_dot2c_f32_f16_e32 v59, v122, v129
	v_dot2c_f32_f16_e32 v56, v122, v130
	v_dot2c_f32_f16_e32 v57, v122, v131
	v_dot2c_f32_f16_e32 v54, v123, v128
	v_dot2c_f32_f16_e32 v55, v123, v129
	v_dot2c_f32_f16_e32 v52, v123, v130
	v_dot2c_f32_f16_e32 v53, v123, v131
	s_waitcnt lgkmcnt(0)
	v_dot2c_f32_f16_e32 v18, v132, v124
	v_dot2c_f32_f16_e32 v19, v132, v125
	v_dot2c_f32_f16_e32 v16, v132, v126
	v_dot2c_f32_f16_e32 v17, v132, v127
	v_dot2c_f32_f16_e32 v30, v133, v124
	v_dot2c_f32_f16_e32 v31, v133, v125
	v_dot2c_f32_f16_e32 v28, v133, v126
	v_dot2c_f32_f16_e32 v29, v133, v127
	v_dot2c_f32_f16_e32 v34, v134, v124
	v_dot2c_f32_f16_e32 v35, v134, v125
	v_dot2c_f32_f16_e32 v32, v134, v126
	v_dot2c_f32_f16_e32 v33, v134, v127
	v_dot2c_f32_f16_e32 v40, v135, v124
	v_dot2c_f32_f16_e32 v41, v135, v125
	v_dot2c_f32_f16_e32 v46, v135, v126
	v_dot2c_f32_f16_e32 v47, v135, v127
	v_dot2c_f32_f16_e32 v22, v132, v128
	v_dot2c_f32_f16_e32 v23, v132, v129
	;; [unrolled: 1-line block ×16, first 2 shown]
	ds_read_b128 v[120:123], v89 offset:14848
	ds_read_b128 v[124:127], v90 offset:31232
	;; [unrolled: 1-line block ×4, first 2 shown]
	s_waitcnt lgkmcnt(2)
	v_dot2c_f32_f16_e32 v78, v120, v124
	v_dot2c_f32_f16_e32 v79, v120, v125
	v_dot2c_f32_f16_e32 v76, v120, v126
	v_dot2c_f32_f16_e32 v77, v120, v127
	v_dot2c_f32_f16_e32 v66, v121, v124
	v_dot2c_f32_f16_e32 v67, v121, v125
	v_dot2c_f32_f16_e32 v64, v121, v126
	v_dot2c_f32_f16_e32 v65, v121, v127
	v_dot2c_f32_f16_e32 v62, v122, v124
	v_dot2c_f32_f16_e32 v63, v122, v125
	v_dot2c_f32_f16_e32 v60, v122, v126
	v_dot2c_f32_f16_e32 v61, v122, v127
	v_dot2c_f32_f16_e32 v50, v123, v124
	v_dot2c_f32_f16_e32 v51, v123, v125
	v_dot2c_f32_f16_e32 v48, v123, v126
	v_dot2c_f32_f16_e32 v49, v123, v127
	s_waitcnt lgkmcnt(1)
	v_dot2c_f32_f16_e32 v74, v120, v128
	v_dot2c_f32_f16_e32 v75, v120, v129
	v_dot2c_f32_f16_e32 v72, v120, v130
	v_dot2c_f32_f16_e32 v73, v120, v131
	v_dot2c_f32_f16_e32 v70, v121, v128
	v_dot2c_f32_f16_e32 v71, v121, v129
	v_dot2c_f32_f16_e32 v68, v121, v130
	v_dot2c_f32_f16_e32 v69, v121, v131
	v_dot2c_f32_f16_e32 v58, v122, v128
	v_dot2c_f32_f16_e32 v59, v122, v129
	v_dot2c_f32_f16_e32 v56, v122, v130
	v_dot2c_f32_f16_e32 v57, v122, v131
	v_dot2c_f32_f16_e32 v54, v123, v128
	v_dot2c_f32_f16_e32 v55, v123, v129
	v_dot2c_f32_f16_e32 v52, v123, v130
	v_dot2c_f32_f16_e32 v53, v123, v131
	;; [unrolled: 17-line block ×3, first 2 shown]
	v_dot2c_f32_f16_e32 v22, v132, v128
	v_dot2c_f32_f16_e32 v23, v132, v129
	;; [unrolled: 1-line block ×16, first 2 shown]
	ds_read_b128 v[120:123], v89 offset:15360
	ds_read_b128 v[124:127], v90 offset:31744
	;; [unrolled: 1-line block ×4, first 2 shown]
	s_waitcnt lgkmcnt(2)
	v_dot2c_f32_f16_e32 v78, v120, v124
	v_dot2c_f32_f16_e32 v79, v120, v125
	v_dot2c_f32_f16_e32 v76, v120, v126
	v_dot2c_f32_f16_e32 v77, v120, v127
	v_dot2c_f32_f16_e32 v66, v121, v124
	v_dot2c_f32_f16_e32 v67, v121, v125
	v_dot2c_f32_f16_e32 v64, v121, v126
	v_dot2c_f32_f16_e32 v65, v121, v127
	v_dot2c_f32_f16_e32 v62, v122, v124
	v_dot2c_f32_f16_e32 v63, v122, v125
	v_dot2c_f32_f16_e32 v60, v122, v126
	v_dot2c_f32_f16_e32 v61, v122, v127
	v_dot2c_f32_f16_e32 v50, v123, v124
	v_dot2c_f32_f16_e32 v51, v123, v125
	v_dot2c_f32_f16_e32 v48, v123, v126
	v_dot2c_f32_f16_e32 v49, v123, v127
	s_waitcnt lgkmcnt(1)
	v_dot2c_f32_f16_e32 v74, v120, v128
	v_dot2c_f32_f16_e32 v75, v120, v129
	v_dot2c_f32_f16_e32 v72, v120, v130
	v_dot2c_f32_f16_e32 v73, v120, v131
	v_dot2c_f32_f16_e32 v70, v121, v128
	v_dot2c_f32_f16_e32 v71, v121, v129
	v_dot2c_f32_f16_e32 v68, v121, v130
	v_dot2c_f32_f16_e32 v69, v121, v131
	v_dot2c_f32_f16_e32 v58, v122, v128
	v_dot2c_f32_f16_e32 v59, v122, v129
	v_dot2c_f32_f16_e32 v56, v122, v130
	v_dot2c_f32_f16_e32 v57, v122, v131
	v_dot2c_f32_f16_e32 v54, v123, v128
	v_dot2c_f32_f16_e32 v55, v123, v129
	v_dot2c_f32_f16_e32 v52, v123, v130
	v_dot2c_f32_f16_e32 v53, v123, v131
	;; [unrolled: 17-line block ×3, first 2 shown]
	v_dot2c_f32_f16_e32 v22, v132, v128
	v_dot2c_f32_f16_e32 v23, v132, v129
	;; [unrolled: 1-line block ×16, first 2 shown]
	ds_read_b128 v[120:123], v89 offset:15872
	ds_read_b128 v[124:127], v90 offset:32256
	;; [unrolled: 1-line block ×4, first 2 shown]
	s_waitcnt lgkmcnt(2)
	v_dot2c_f32_f16_e32 v78, v120, v124
	v_dot2c_f32_f16_e32 v79, v120, v125
	v_dot2c_f32_f16_e32 v76, v120, v126
	v_dot2c_f32_f16_e32 v77, v120, v127
	s_waitcnt lgkmcnt(1)
	v_dot2c_f32_f16_e32 v74, v120, v128
	v_dot2c_f32_f16_e32 v75, v120, v129
	;; [unrolled: 1-line block ×4, first 2 shown]
	v_cndmask_b32_e64 v120, 0, v8, s[4:5]
	v_cmp_gt_i32_e64 s[4:5], s55, v84
	v_add_u32_e32 v84, v117, v115
	v_cmp_gt_i32_e64 s[8:9], s19, v84
	v_add_u32_e32 v8, v116, v114
	v_cmp_le_i32_e64 s[6:7], s51, v84
	s_and_b64 s[10:11], s[8:9], s[4:5]
	v_cmp_le_i32_e64 s[4:5], s69, v8
	v_cmp_gt_i32_e64 s[8:9], s50, v8
	s_and_b64 s[10:11], s[10:11], s[6:7]
	s_and_b64 s[8:9], s[4:5], s[8:9]
	v_cmp_le_i32_e64 s[4:5], s70, v10
	v_cmp_gt_i32_e64 s[6:7], s48, v10
	s_and_b64 s[4:5], s[4:5], s[6:7]
	s_and_b64 s[4:5], s[10:11], s[4:5]
	;; [unrolled: 1-line block ×3, first 2 shown]
	s_and_b64 s[4:5], vcc, s[4:5]
	v_add_u32_e32 v113, v83, v84
	s_waitcnt vmcnt(1)
	v_cndmask_b32_e64 v7, 0, v7, s[4:5]
	v_cndmask_b32_e64 v6, 0, v6, s[4:5]
	;; [unrolled: 1-line block ×4, first 2 shown]
	v_cmp_gt_i32_e64 s[4:5], s55, v82
	v_mad_u64_u32 v[82:83], s[6:7], v87, s54, v[8:9]
	v_mad_u64_u32 v[4:5], s[6:7], v112, s61, v[10:11]
	v_cmp_gt_i32_e64 s[8:9], s19, v113
	v_cmp_le_i32_e64 s[6:7], s51, v113
	s_and_b64 s[10:11], s[8:9], s[4:5]
	v_cmp_le_i32_e64 s[4:5], s69, v82
	v_cmp_gt_i32_e64 s[8:9], s50, v82
	s_and_b64 s[10:11], s[10:11], s[6:7]
	s_and_b64 s[8:9], s[4:5], s[8:9]
	v_cmp_le_i32_e64 s[4:5], s70, v4
	v_cmp_gt_i32_e64 s[6:7], s48, v4
	s_and_b64 s[4:5], s[4:5], s[6:7]
	s_and_b64 s[4:5], s[10:11], s[4:5]
	;; [unrolled: 1-line block ×3, first 2 shown]
	s_and_b64 s[4:5], vcc, s[4:5]
	v_dot2c_f32_f16_e32 v66, v121, v124
	v_dot2c_f32_f16_e32 v67, v121, v125
	;; [unrolled: 1-line block ×24, first 2 shown]
	s_waitcnt lgkmcnt(0)
	v_dot2c_f32_f16_e32 v18, v132, v124
	v_dot2c_f32_f16_e32 v19, v132, v125
	;; [unrolled: 1-line block ×32, first 2 shown]
	s_cmp_lt_i32 s76, s63
	v_mov_b32_e32 v83, v4
	s_waitcnt vmcnt(0)
	v_cndmask_b32_e64 v3, 0, v3, s[4:5]
	v_cndmask_b32_e64 v2, 0, v2, s[4:5]
	;; [unrolled: 1-line block ×4, first 2 shown]
	ds_write2st64_b32 v91, v12, v13 offset0:64 offset1:66
	ds_write2st64_b32 v91, v14, v15 offset0:68 offset1:70
	;; [unrolled: 1-line block ×4, first 2 shown]
	ds_write2st64_b32 v91, v115, v114 offset1:2
	ds_write2st64_b32 v91, v6, v7 offset0:4 offset1:6
	ds_write2st64_b32 v91, v0, v1 offset0:8 offset1:10
	;; [unrolled: 1-line block ×3, first 2 shown]
	s_cbranch_scc1 .LBB10_1
; %bb.2:
	s_waitcnt lgkmcnt(0)
	s_barrier
	ds_read_b128 v[0:3], v89
	ds_read_b128 v[4:7], v90 offset:16384
	ds_read_b128 v[8:11], v90 offset:16640
	;; [unrolled: 1-line block ×3, first 2 shown]
	s_mul_i32 s2, s14, s72
	s_mul_hi_u32 s3, s14, s71
	s_add_i32 s2, s3, s2
	s_waitcnt lgkmcnt(2)
	v_dot2c_f32_f16_e32 v78, v0, v4
	v_dot2c_f32_f16_e32 v79, v0, v5
	;; [unrolled: 1-line block ×16, first 2 shown]
	s_waitcnt lgkmcnt(1)
	v_dot2c_f32_f16_e32 v74, v0, v8
	v_dot2c_f32_f16_e32 v75, v0, v9
	;; [unrolled: 1-line block ×16, first 2 shown]
	ds_read_b128 v[0:3], v89 offset:512
	s_waitcnt lgkmcnt(1)
	v_dot2c_f32_f16_e32 v18, v12, v4
	v_dot2c_f32_f16_e32 v19, v12, v5
	v_dot2c_f32_f16_e32 v16, v12, v6
	v_dot2c_f32_f16_e32 v17, v12, v7
	v_dot2c_f32_f16_e32 v30, v13, v4
	v_dot2c_f32_f16_e32 v31, v13, v5
	v_dot2c_f32_f16_e32 v28, v13, v6
	v_dot2c_f32_f16_e32 v29, v13, v7
	v_dot2c_f32_f16_e32 v34, v14, v4
	v_dot2c_f32_f16_e32 v35, v14, v5
	v_dot2c_f32_f16_e32 v32, v14, v6
	v_dot2c_f32_f16_e32 v33, v14, v7
	v_dot2c_f32_f16_e32 v40, v15, v4
	v_dot2c_f32_f16_e32 v41, v15, v5
	v_dot2c_f32_f16_e32 v46, v15, v6
	v_dot2c_f32_f16_e32 v47, v15, v7
	ds_read_b128 v[4:7], v90 offset:16896
	v_dot2c_f32_f16_e32 v22, v12, v8
	v_dot2c_f32_f16_e32 v23, v12, v9
	;; [unrolled: 1-line block ×16, first 2 shown]
	ds_read_b128 v[8:11], v90 offset:17152
	ds_read_b128 v[12:15], v89 offset:768
	s_waitcnt lgkmcnt(2)
	v_dot2c_f32_f16_e32 v78, v0, v4
	v_dot2c_f32_f16_e32 v79, v0, v5
	;; [unrolled: 1-line block ×16, first 2 shown]
	s_waitcnt lgkmcnt(1)
	v_dot2c_f32_f16_e32 v74, v0, v8
	v_dot2c_f32_f16_e32 v75, v0, v9
	;; [unrolled: 1-line block ×16, first 2 shown]
	ds_read_b128 v[0:3], v89 offset:1024
	s_waitcnt lgkmcnt(1)
	v_dot2c_f32_f16_e32 v18, v12, v4
	v_dot2c_f32_f16_e32 v19, v12, v5
	;; [unrolled: 1-line block ×16, first 2 shown]
	ds_read_b128 v[4:7], v90 offset:17408
	v_dot2c_f32_f16_e32 v22, v12, v8
	v_dot2c_f32_f16_e32 v23, v12, v9
	;; [unrolled: 1-line block ×16, first 2 shown]
	ds_read_b128 v[8:11], v90 offset:17664
	ds_read_b128 v[12:15], v89 offset:1280
	s_waitcnt lgkmcnt(2)
	v_dot2c_f32_f16_e32 v78, v0, v4
	v_dot2c_f32_f16_e32 v79, v0, v5
	;; [unrolled: 1-line block ×16, first 2 shown]
	s_waitcnt lgkmcnt(1)
	v_dot2c_f32_f16_e32 v74, v0, v8
	v_dot2c_f32_f16_e32 v75, v0, v9
	;; [unrolled: 1-line block ×16, first 2 shown]
	ds_read_b128 v[0:3], v89 offset:1536
	s_waitcnt lgkmcnt(1)
	v_dot2c_f32_f16_e32 v18, v12, v4
	v_dot2c_f32_f16_e32 v19, v12, v5
	;; [unrolled: 1-line block ×16, first 2 shown]
	ds_read_b128 v[4:7], v90 offset:17920
	v_dot2c_f32_f16_e32 v22, v12, v8
	v_dot2c_f32_f16_e32 v23, v12, v9
	;; [unrolled: 1-line block ×16, first 2 shown]
	ds_read_b128 v[8:11], v90 offset:18176
	ds_read_b128 v[12:15], v89 offset:1792
	s_waitcnt lgkmcnt(2)
	v_dot2c_f32_f16_e32 v78, v0, v4
	v_dot2c_f32_f16_e32 v79, v0, v5
	;; [unrolled: 1-line block ×16, first 2 shown]
	s_waitcnt lgkmcnt(1)
	v_dot2c_f32_f16_e32 v74, v0, v8
	v_dot2c_f32_f16_e32 v75, v0, v9
	;; [unrolled: 1-line block ×16, first 2 shown]
	ds_read_b128 v[0:3], v89 offset:2048
	s_waitcnt lgkmcnt(1)
	v_dot2c_f32_f16_e32 v18, v12, v4
	v_dot2c_f32_f16_e32 v19, v12, v5
	;; [unrolled: 1-line block ×16, first 2 shown]
	ds_read_b128 v[4:7], v90 offset:18432
	v_dot2c_f32_f16_e32 v22, v12, v8
	v_dot2c_f32_f16_e32 v23, v12, v9
	;; [unrolled: 1-line block ×16, first 2 shown]
	ds_read_b128 v[8:11], v90 offset:18688
	ds_read_b128 v[12:15], v89 offset:2304
	s_waitcnt lgkmcnt(2)
	v_dot2c_f32_f16_e32 v78, v0, v4
	v_dot2c_f32_f16_e32 v79, v0, v5
	;; [unrolled: 1-line block ×16, first 2 shown]
	s_waitcnt lgkmcnt(1)
	v_dot2c_f32_f16_e32 v74, v0, v8
	v_dot2c_f32_f16_e32 v75, v0, v9
	;; [unrolled: 1-line block ×16, first 2 shown]
	ds_read_b128 v[0:3], v89 offset:2560
	s_waitcnt lgkmcnt(1)
	v_dot2c_f32_f16_e32 v18, v12, v4
	v_dot2c_f32_f16_e32 v19, v12, v5
	;; [unrolled: 1-line block ×16, first 2 shown]
	ds_read_b128 v[4:7], v90 offset:18944
	v_dot2c_f32_f16_e32 v22, v12, v8
	v_dot2c_f32_f16_e32 v23, v12, v9
	;; [unrolled: 1-line block ×16, first 2 shown]
	ds_read_b128 v[8:11], v90 offset:19200
	ds_read_b128 v[12:15], v89 offset:2816
	s_waitcnt lgkmcnt(2)
	v_dot2c_f32_f16_e32 v78, v0, v4
	v_dot2c_f32_f16_e32 v79, v0, v5
	;; [unrolled: 1-line block ×16, first 2 shown]
	s_waitcnt lgkmcnt(1)
	v_dot2c_f32_f16_e32 v74, v0, v8
	v_dot2c_f32_f16_e32 v75, v0, v9
	;; [unrolled: 1-line block ×16, first 2 shown]
	ds_read_b128 v[0:3], v89 offset:3072
	s_waitcnt lgkmcnt(1)
	v_dot2c_f32_f16_e32 v18, v12, v4
	v_dot2c_f32_f16_e32 v19, v12, v5
	;; [unrolled: 1-line block ×16, first 2 shown]
	ds_read_b128 v[4:7], v90 offset:19456
	v_dot2c_f32_f16_e32 v22, v12, v8
	v_dot2c_f32_f16_e32 v23, v12, v9
	;; [unrolled: 1-line block ×16, first 2 shown]
	ds_read_b128 v[8:11], v90 offset:19712
	ds_read_b128 v[12:15], v89 offset:3328
	s_waitcnt lgkmcnt(2)
	v_dot2c_f32_f16_e32 v78, v0, v4
	v_dot2c_f32_f16_e32 v79, v0, v5
	;; [unrolled: 1-line block ×16, first 2 shown]
	s_waitcnt lgkmcnt(1)
	v_dot2c_f32_f16_e32 v74, v0, v8
	v_dot2c_f32_f16_e32 v75, v0, v9
	;; [unrolled: 1-line block ×16, first 2 shown]
	ds_read_b128 v[0:3], v89 offset:3584
	s_waitcnt lgkmcnt(1)
	v_dot2c_f32_f16_e32 v18, v12, v4
	v_dot2c_f32_f16_e32 v19, v12, v5
	;; [unrolled: 1-line block ×16, first 2 shown]
	ds_read_b128 v[4:7], v90 offset:19968
	v_dot2c_f32_f16_e32 v22, v12, v8
	v_dot2c_f32_f16_e32 v23, v12, v9
	;; [unrolled: 1-line block ×16, first 2 shown]
	ds_read_b128 v[8:11], v90 offset:20224
	ds_read_b128 v[12:15], v89 offset:3840
	s_waitcnt lgkmcnt(2)
	v_dot2c_f32_f16_e32 v78, v0, v4
	v_dot2c_f32_f16_e32 v79, v0, v5
	v_dot2c_f32_f16_e32 v76, v0, v6
	v_dot2c_f32_f16_e32 v77, v0, v7
	v_dot2c_f32_f16_e32 v66, v1, v4
	v_dot2c_f32_f16_e32 v67, v1, v5
	v_dot2c_f32_f16_e32 v64, v1, v6
	v_dot2c_f32_f16_e32 v65, v1, v7
	v_dot2c_f32_f16_e32 v62, v2, v4
	v_dot2c_f32_f16_e32 v63, v2, v5
	v_dot2c_f32_f16_e32 v60, v2, v6
	v_dot2c_f32_f16_e32 v61, v2, v7
	v_dot2c_f32_f16_e32 v50, v3, v4
	v_dot2c_f32_f16_e32 v51, v3, v5
	v_dot2c_f32_f16_e32 v48, v3, v6
	v_dot2c_f32_f16_e32 v49, v3, v7
	s_waitcnt lgkmcnt(1)
	v_dot2c_f32_f16_e32 v74, v0, v8
	v_dot2c_f32_f16_e32 v75, v0, v9
	;; [unrolled: 1-line block ×16, first 2 shown]
	ds_read_b128 v[0:3], v89 offset:4096
	s_waitcnt lgkmcnt(1)
	v_dot2c_f32_f16_e32 v18, v12, v4
	v_dot2c_f32_f16_e32 v19, v12, v5
	;; [unrolled: 1-line block ×16, first 2 shown]
	ds_read_b128 v[4:7], v90 offset:20480
	v_dot2c_f32_f16_e32 v22, v12, v8
	v_dot2c_f32_f16_e32 v23, v12, v9
	;; [unrolled: 1-line block ×16, first 2 shown]
	ds_read_b128 v[8:11], v90 offset:20736
	ds_read_b128 v[12:15], v89 offset:4352
	s_waitcnt lgkmcnt(2)
	v_dot2c_f32_f16_e32 v78, v0, v4
	v_dot2c_f32_f16_e32 v79, v0, v5
	;; [unrolled: 1-line block ×16, first 2 shown]
	s_waitcnt lgkmcnt(1)
	v_dot2c_f32_f16_e32 v74, v0, v8
	v_dot2c_f32_f16_e32 v75, v0, v9
	;; [unrolled: 1-line block ×16, first 2 shown]
	ds_read_b128 v[0:3], v89 offset:4608
	s_waitcnt lgkmcnt(1)
	v_dot2c_f32_f16_e32 v18, v12, v4
	v_dot2c_f32_f16_e32 v19, v12, v5
	;; [unrolled: 1-line block ×16, first 2 shown]
	ds_read_b128 v[4:7], v90 offset:20992
	v_dot2c_f32_f16_e32 v22, v12, v8
	v_dot2c_f32_f16_e32 v23, v12, v9
	;; [unrolled: 1-line block ×16, first 2 shown]
	ds_read_b128 v[8:11], v90 offset:21248
	ds_read_b128 v[12:15], v89 offset:4864
	s_waitcnt lgkmcnt(2)
	v_dot2c_f32_f16_e32 v78, v0, v4
	v_dot2c_f32_f16_e32 v79, v0, v5
	;; [unrolled: 1-line block ×16, first 2 shown]
	s_waitcnt lgkmcnt(1)
	v_dot2c_f32_f16_e32 v74, v0, v8
	v_dot2c_f32_f16_e32 v75, v0, v9
	;; [unrolled: 1-line block ×16, first 2 shown]
	ds_read_b128 v[0:3], v89 offset:5120
	s_waitcnt lgkmcnt(1)
	v_dot2c_f32_f16_e32 v18, v12, v4
	v_dot2c_f32_f16_e32 v19, v12, v5
	v_dot2c_f32_f16_e32 v16, v12, v6
	v_dot2c_f32_f16_e32 v17, v12, v7
	v_dot2c_f32_f16_e32 v30, v13, v4
	v_dot2c_f32_f16_e32 v31, v13, v5
	v_dot2c_f32_f16_e32 v28, v13, v6
	v_dot2c_f32_f16_e32 v29, v13, v7
	v_dot2c_f32_f16_e32 v34, v14, v4
	v_dot2c_f32_f16_e32 v35, v14, v5
	v_dot2c_f32_f16_e32 v32, v14, v6
	v_dot2c_f32_f16_e32 v33, v14, v7
	v_dot2c_f32_f16_e32 v40, v15, v4
	v_dot2c_f32_f16_e32 v41, v15, v5
	v_dot2c_f32_f16_e32 v46, v15, v6
	v_dot2c_f32_f16_e32 v47, v15, v7
	ds_read_b128 v[4:7], v90 offset:21504
	v_dot2c_f32_f16_e32 v22, v12, v8
	v_dot2c_f32_f16_e32 v23, v12, v9
	;; [unrolled: 1-line block ×16, first 2 shown]
	ds_read_b128 v[8:11], v90 offset:21760
	ds_read_b128 v[12:15], v89 offset:5376
	s_waitcnt lgkmcnt(2)
	v_dot2c_f32_f16_e32 v78, v0, v4
	v_dot2c_f32_f16_e32 v79, v0, v5
	;; [unrolled: 1-line block ×16, first 2 shown]
	s_waitcnt lgkmcnt(1)
	v_dot2c_f32_f16_e32 v74, v0, v8
	v_dot2c_f32_f16_e32 v75, v0, v9
	;; [unrolled: 1-line block ×16, first 2 shown]
	ds_read_b128 v[0:3], v89 offset:5632
	s_waitcnt lgkmcnt(1)
	v_dot2c_f32_f16_e32 v18, v12, v4
	v_dot2c_f32_f16_e32 v19, v12, v5
	;; [unrolled: 1-line block ×16, first 2 shown]
	ds_read_b128 v[4:7], v90 offset:22016
	v_dot2c_f32_f16_e32 v22, v12, v8
	v_dot2c_f32_f16_e32 v23, v12, v9
	;; [unrolled: 1-line block ×16, first 2 shown]
	ds_read_b128 v[8:11], v90 offset:22272
	ds_read_b128 v[12:15], v89 offset:5888
	s_waitcnt lgkmcnt(2)
	v_dot2c_f32_f16_e32 v78, v0, v4
	v_dot2c_f32_f16_e32 v79, v0, v5
	;; [unrolled: 1-line block ×16, first 2 shown]
	s_waitcnt lgkmcnt(1)
	v_dot2c_f32_f16_e32 v74, v0, v8
	v_dot2c_f32_f16_e32 v75, v0, v9
	;; [unrolled: 1-line block ×16, first 2 shown]
	ds_read_b128 v[0:3], v89 offset:6144
	s_waitcnt lgkmcnt(1)
	v_dot2c_f32_f16_e32 v18, v12, v4
	v_dot2c_f32_f16_e32 v19, v12, v5
	;; [unrolled: 1-line block ×16, first 2 shown]
	ds_read_b128 v[4:7], v90 offset:22528
	v_dot2c_f32_f16_e32 v22, v12, v8
	v_dot2c_f32_f16_e32 v23, v12, v9
	;; [unrolled: 1-line block ×16, first 2 shown]
	ds_read_b128 v[8:11], v90 offset:22784
	ds_read_b128 v[12:15], v89 offset:6400
	s_waitcnt lgkmcnt(2)
	v_dot2c_f32_f16_e32 v78, v0, v4
	v_dot2c_f32_f16_e32 v79, v0, v5
	;; [unrolled: 1-line block ×16, first 2 shown]
	s_waitcnt lgkmcnt(1)
	v_dot2c_f32_f16_e32 v74, v0, v8
	v_dot2c_f32_f16_e32 v75, v0, v9
	;; [unrolled: 1-line block ×16, first 2 shown]
	ds_read_b128 v[0:3], v89 offset:6656
	s_waitcnt lgkmcnt(1)
	v_dot2c_f32_f16_e32 v18, v12, v4
	v_dot2c_f32_f16_e32 v19, v12, v5
	;; [unrolled: 1-line block ×16, first 2 shown]
	ds_read_b128 v[4:7], v90 offset:23040
	v_dot2c_f32_f16_e32 v22, v12, v8
	v_dot2c_f32_f16_e32 v23, v12, v9
	;; [unrolled: 1-line block ×16, first 2 shown]
	ds_read_b128 v[8:11], v90 offset:23296
	ds_read_b128 v[12:15], v89 offset:6912
	s_mul_i32 s3, s15, s71
	s_add_i32 s3, s2, s3
	s_mul_i32 s2, s14, s71
	s_lshl_b64 s[2:3], s[2:3], 1
	s_load_dwordx2 s[0:1], s[0:1], 0x10
	s_add_u32 s8, s34, s2
	s_waitcnt lgkmcnt(0)
	v_dot2c_f32_f16_e32 v78, v0, v4
	v_dot2c_f32_f16_e32 v79, v0, v5
	;; [unrolled: 1-line block ×32, first 2 shown]
	ds_read_b128 v[0:3], v89 offset:7168
	v_dot2c_f32_f16_e32 v18, v12, v4
	v_dot2c_f32_f16_e32 v19, v12, v5
	;; [unrolled: 1-line block ×16, first 2 shown]
	ds_read_b128 v[4:7], v90 offset:23552
	v_dot2c_f32_f16_e32 v22, v12, v8
	v_dot2c_f32_f16_e32 v23, v12, v9
	;; [unrolled: 1-line block ×16, first 2 shown]
	ds_read_b128 v[8:11], v90 offset:23808
	ds_read_b128 v[12:15], v89 offset:7424
	s_addc_u32 s9, s35, s3
	s_mul_i32 s2, s12, s72
	s_mul_hi_u32 s3, s12, s71
	s_add_i32 s2, s3, s2
	s_mul_i32 s3, s13, s71
	s_add_i32 s3, s2, s3
	s_mul_i32 s2, s12, s71
	s_lshl_b64 s[2:3], s[2:3], 1
	v_lshl_or_b32 v109, s39, 7, v88
	s_add_u32 s4, s0, s2
	s_waitcnt lgkmcnt(2)
	v_dot2c_f32_f16_e32 v78, v0, v4
	v_dot2c_f32_f16_e32 v79, v0, v5
	v_dot2c_f32_f16_e32 v76, v0, v6
	v_dot2c_f32_f16_e32 v77, v0, v7
	v_dot2c_f32_f16_e32 v66, v1, v4
	v_dot2c_f32_f16_e32 v67, v1, v5
	v_dot2c_f32_f16_e32 v64, v1, v6
	v_dot2c_f32_f16_e32 v65, v1, v7
	v_dot2c_f32_f16_e32 v62, v2, v4
	v_dot2c_f32_f16_e32 v63, v2, v5
	v_dot2c_f32_f16_e32 v60, v2, v6
	v_dot2c_f32_f16_e32 v61, v2, v7
	v_dot2c_f32_f16_e32 v50, v3, v4
	v_dot2c_f32_f16_e32 v51, v3, v5
	v_dot2c_f32_f16_e32 v48, v3, v6
	v_dot2c_f32_f16_e32 v49, v3, v7
	s_waitcnt lgkmcnt(1)
	v_dot2c_f32_f16_e32 v74, v0, v8
	v_dot2c_f32_f16_e32 v75, v0, v9
	;; [unrolled: 1-line block ×16, first 2 shown]
	ds_read_b128 v[80:83], v89 offset:7680
	ds_read_b128 v[0:3], v90 offset:24064
	s_waitcnt lgkmcnt(2)
	v_dot2c_f32_f16_e32 v18, v12, v4
	v_dot2c_f32_f16_e32 v19, v12, v5
	;; [unrolled: 1-line block ×8, first 2 shown]
	v_lshl_add_u32 v108, s33, 7, v85
	v_mul_lo_u32 v12, v109, s20
	s_addc_u32 s0, s1, s3
	v_dot2c_f32_f16_e32 v30, v13, v4
	v_dot2c_f32_f16_e32 v31, v13, v5
	;; [unrolled: 1-line block ×24, first 2 shown]
	ds_read_b128 v[4:7], v90 offset:24320
	ds_read_b128 v[8:11], v89 offset:7936
	v_mad_u64_u32 v[12:13], s[2:3], v108, s21, v[12:13]
	v_add_u32_e32 v84, s20, v12
	s_lshl_b32 s2, s21, 6
	v_add_u32_e32 v88, s20, v84
	s_lshl_b32 s6, s22, 1
	s_and_b32 s5, s0, 0xffff
	s_mov_b32 s7, 0x20000
	v_lshlrev_b32_e32 v13, 1, v12
	v_add_lshl_u32 v86, v88, s2, 1
	s_waitcnt lgkmcnt(2)
	v_dot2c_f32_f16_e32 v62, v82, v0
	v_dot2c_f32_f16_e32 v63, v82, v1
	;; [unrolled: 1-line block ×4, first 2 shown]
	s_waitcnt lgkmcnt(1)
	v_dot2c_f32_f16_e32 v58, v82, v4
	v_dot2c_f32_f16_e32 v59, v82, v5
	;; [unrolled: 1-line block ×3, first 2 shown]
	buffer_load_dwordx2 v[14:15], v13, s[4:7], 0 offen
	v_dot2c_f32_f16_e32 v57, v82, v7
	v_add_lshl_u32 v82, v84, s2, 1
	buffer_load_dwordx2 v[86:87], v86, s[4:7], 0 offen
	v_add_lshl_u32 v13, v12, s2, 1
	v_lshlrev_b32_e32 v12, 1, v84
	v_lshlrev_b32_e32 v84, 1, v88
	v_add_u32_e32 v88, s20, v88
	v_lshlrev_b32_e32 v89, 1, v88
	v_dot2c_f32_f16_e32 v50, v83, v0
	v_dot2c_f32_f16_e32 v51, v83, v1
	;; [unrolled: 1-line block ×8, first 2 shown]
	buffer_load_dwordx2 v[82:83], v82, s[4:7], 0 offen
	v_dot2c_f32_f16_e32 v78, v80, v0
	buffer_load_dwordx2 v[90:91], v89, s[4:7], 0 offen
	v_add_lshl_u32 v89, v88, s2, 1
	v_dot2c_f32_f16_e32 v79, v80, v1
	v_dot2c_f32_f16_e32 v76, v80, v2
	;; [unrolled: 1-line block ×15, first 2 shown]
	buffer_load_dwordx2 v[80:81], v13, s[4:7], 0 offen
	buffer_load_dwordx2 v[92:93], v89, s[4:7], 0 offen
	v_mad_u64_u32 v[88:89], s[0:1], s20, 61, v[88:89]
	v_add_u32_e32 v100, s20, v88
	s_waitcnt lgkmcnt(0)
	v_dot2c_f32_f16_e32 v18, v8, v0
	v_dot2c_f32_f16_e32 v30, v9, v0
	v_lshlrev_b32_e32 v89, 1, v88
	v_dot2c_f32_f16_e32 v34, v10, v0
	v_dot2c_f32_f16_e32 v40, v11, v0
	v_add_u32_e32 v0, s20, v100
	buffer_load_dwordx2 v[94:95], v89, s[4:7], 0 offen
	v_add_lshl_u32 v89, v88, s2, 1
	v_lshlrev_b32_e32 v88, 1, v100
	v_add_lshl_u32 v98, v100, s2, 1
	v_lshlrev_b32_e32 v100, 1, v0
	buffer_load_dwordx2 v[96:97], v89, s[4:7], 0 offen
	v_dot2c_f32_f16_e32 v19, v8, v1
	buffer_load_dwordx2 v[88:89], v88, s[4:7], 0 offen
	v_dot2c_f32_f16_e32 v31, v9, v1
	;; [unrolled: 2-line block ×4, first 2 shown]
	buffer_load_dwordx2 v[84:85], v84, s[4:7], 0 offen
	v_add_lshl_u32 v1, v0, s2, 1
	buffer_load_dwordx2 v[98:99], v98, s[4:7], 0 offen
	v_add_u32_e32 v0, s20, v0
	buffer_load_dwordx2 v[102:103], v1, s[4:7], 0 offen
	v_lshlrev_b32_e32 v1, 1, v0
	buffer_load_dwordx2 v[104:105], v1, s[4:7], 0 offen
	v_add_lshl_u32 v0, v0, s2, 1
	buffer_load_dwordx2 v[106:107], v0, s[4:7], 0 offen
	v_cmp_gt_i32_e32 vcc, s49, v108
	v_cmp_gt_i32_e64 s[0:1], s31, v109
	s_and_b64 s[2:3], s[0:1], vcc
	v_dot2c_f32_f16_e32 v21, v8, v7
	v_dot2c_f32_f16_e32 v25, v9, v7
	v_dot2c_f32_f16_e32 v37, v10, v7
	v_dot2c_f32_f16_e32 v43, v11, v7
	v_dot2c_f32_f16_e32 v23, v8, v5
	v_dot2c_f32_f16_e32 v27, v9, v5
	v_dot2c_f32_f16_e32 v39, v10, v5
	v_dot2c_f32_f16_e32 v45, v11, v5
	s_waitcnt vmcnt(15)
	v_cndmask_b32_e64 v7, 0, v14, s[2:3]
	v_add_u32_e32 v14, 64, v108
	v_cndmask_b32_e64 v5, 0, v15, s[2:3]
	v_cmp_gt_i32_e64 s[2:3], s49, v14
	s_and_b64 s[0:1], s[0:1], s[2:3]
	v_or_b32_e32 v110, 2, v109
	v_or_b32_e32 v111, 3, v109
	;; [unrolled: 1-line block ×3, first 2 shown]
	v_dot2c_f32_f16_e32 v17, v8, v3
	v_dot2c_f32_f16_e32 v29, v9, v3
	v_dot2c_f32_f16_e32 v33, v10, v3
	v_dot2c_f32_f16_e32 v47, v11, v3
	v_add_u32_e32 v3, 0x41, v109
	v_dot2c_f32_f16_e32 v16, v8, v2
	v_dot2c_f32_f16_e32 v28, v9, v2
	v_dot2c_f32_f16_e32 v32, v10, v2
	v_dot2c_f32_f16_e32 v46, v11, v2
	v_dot2c_f32_f16_e32 v22, v8, v4
	v_dot2c_f32_f16_e32 v26, v9, v4
	v_dot2c_f32_f16_e32 v38, v10, v4
	v_dot2c_f32_f16_e32 v44, v11, v4
	v_dot2c_f32_f16_e32 v20, v8, v6
	v_dot2c_f32_f16_e32 v24, v9, v6
	v_dot2c_f32_f16_e32 v36, v10, v6
	v_dot2c_f32_f16_e32 v42, v11, v6
	v_cvt_f32_f16_e32 v6, v7
	v_cvt_f32_f16_sdwa v7, v7 dst_sel:DWORD dst_unused:UNUSED_PAD src0_sel:WORD_1
	v_cvt_f32_f16_e32 v10, v5
	v_cvt_f32_f16_sdwa v11, v5 dst_sel:DWORD dst_unused:UNUSED_PAD src0_sel:WORD_1
	v_mul_lo_u32 v8, v109, s16
	v_pk_add_f32 v[6:7], v[78:79], v[6:7]
	s_lshl_b32 s10, s18, 1
	v_max_f32_e32 v5, 0, v7
	v_max_f32_e32 v6, 0, v6
	v_pk_add_f32 v[10:11], v[76:77], v[10:11]
	v_cvt_pk_f16_f32 v6, v6, v5
	s_waitcnt vmcnt(11)
	v_cndmask_b32_e64 v15, 0, v81, s[0:1]
	v_or_b32_e32 v81, 1, v109
	v_cndmask_b32_e64 v80, 0, v80, s[0:1]
	v_cmp_gt_i32_e64 s[0:1], s31, v81
	s_and_b64 s[4:5], s[0:1], vcc
	s_and_b64 s[0:1], s[0:1], s[2:3]
	v_cndmask_b32_e64 v83, 0, v83, s[0:1]
	v_cndmask_b32_e64 v82, 0, v82, s[0:1]
	v_cmp_gt_i32_e64 s[0:1], s31, v110
	v_max_f32_e32 v5, 0, v11
	v_max_f32_e32 v7, 0, v10
	v_cvt_f32_f16_e32 v10, v80
	v_cvt_f32_f16_sdwa v11, v80 dst_sel:DWORD dst_unused:UNUSED_PAD src0_sel:WORD_1
	v_bfrev_b32_e32 v76, 1
	v_cvt_pk_f16_f32 v7, v7, v5
	s_and_b32 s9, s9, 0xffff
	s_mov_b32 s11, s7
	s_waitcnt vmcnt(5)
	v_cndmask_b32_e64 v13, 0, v13, s[4:5]
	v_cndmask_b32_e64 v12, 0, v12, s[4:5]
	s_and_b64 s[4:5], s[0:1], vcc
	s_and_b64 s[0:1], s[0:1], s[2:3]
	v_cndmask_b32_e64 v87, 0, v87, s[0:1]
	v_cndmask_b32_e64 v86, 0, v86, s[0:1]
	v_cmp_gt_i32_e64 s[0:1], s31, v111
	s_waitcnt vmcnt(4)
	v_cndmask_b32_e64 v85, 0, v85, s[4:5]
	v_cndmask_b32_e64 v84, 0, v84, s[4:5]
	s_and_b64 s[4:5], s[0:1], vcc
	s_and_b64 s[0:1], s[0:1], s[2:3]
	v_cndmask_b32_e64 v93, 0, v93, s[0:1]
	v_cndmask_b32_e64 v92, 0, v92, s[0:1]
	v_cmp_gt_i32_e64 s[0:1], s31, v0
	v_cndmask_b32_e64 v91, 0, v91, s[4:5]
	v_cndmask_b32_e64 v90, 0, v90, s[4:5]
	s_and_b64 s[4:5], s[0:1], vcc
	s_and_b64 s[0:1], s[0:1], s[2:3]
	v_cndmask_b32_e64 v2, 0, v94, s[4:5]
	v_cndmask_b32_e64 v4, 0, v97, s[0:1]
	;; [unrolled: 1-line block ×3, first 2 shown]
	v_cmp_gt_i32_e64 s[0:1], s31, v3
	v_cndmask_b32_e64 v1, 0, v95, s[4:5]
	s_and_b64 s[4:5], s[0:1], vcc
	s_and_b64 s[0:1], s[0:1], s[2:3]
	v_add_u32_e32 v97, 0x42, v109
	s_waitcnt vmcnt(3)
	v_cndmask_b32_e64 v95, 0, v99, s[0:1]
	v_cndmask_b32_e64 v96, 0, v98, s[0:1]
	v_cmp_gt_i32_e64 s[0:1], s31, v97
	v_cndmask_b32_e64 v89, 0, v89, s[4:5]
	v_cndmask_b32_e64 v88, 0, v88, s[4:5]
	s_and_b64 s[4:5], s[0:1], vcc
	s_and_b64 s[0:1], s[0:1], s[2:3]
	v_cndmask_b32_e64 v98, 0, v101, s[4:5]
	s_waitcnt vmcnt(2)
	v_cndmask_b32_e64 v101, 0, v102, s[0:1]
	v_add_u32_e32 v102, 0x43, v109
	v_cndmask_b32_e64 v99, 0, v100, s[4:5]
	v_cndmask_b32_e64 v100, 0, v103, s[0:1]
	v_cmp_gt_i32_e64 s[0:1], s31, v102
	s_and_b64 vcc, s[0:1], vcc
	s_waitcnt vmcnt(1)
	v_cndmask_b32_e32 v103, 0, v105, vcc
	v_cndmask_b32_e32 v104, 0, v104, vcc
	s_and_b64 vcc, s[0:1], s[2:3]
	s_waitcnt vmcnt(0)
	v_cndmask_b32_e32 v105, 0, v107, vcc
	v_cndmask_b32_e32 v106, 0, v106, vcc
	v_mad_u64_u32 v[8:9], s[0:1], v108, s17, v[8:9]
	v_cmp_gt_i32_e32 vcc, s24, v108
	v_cmp_gt_i32_e64 s[2:3], s23, v109
	s_and_b64 s[0:1], s[2:3], vcc
	v_cndmask_b32_e64 v5, v76, 0, s[0:1]
	v_lshl_add_u32 v5, v8, 1, v5
	buffer_store_dwordx2 v[6:7], v5, s[8:11], 0 offen
	v_pk_add_f32 v[6:7], v[74:75], v[10:11]
	v_cvt_f32_f16_e32 v10, v15
	v_cvt_f32_f16_sdwa v11, v15 dst_sel:DWORD dst_unused:UNUSED_PAD src0_sel:WORD_1
	v_max_f32_e32 v7, 0, v7
	v_max_f32_e32 v6, 0, v6
	v_cvt_pk_f16_f32 v6, v6, v7
	v_pk_add_f32 v[10:11], v[72:73], v[10:11]
	v_cmp_gt_i32_e64 s[0:1], s24, v14
	v_max_f32_e32 v7, 0, v11
	v_max_f32_e32 v9, 0, v10
	v_cvt_f32_f16_e32 v10, v82
	v_cvt_f32_f16_sdwa v11, v82 dst_sel:DWORD dst_unused:UNUSED_PAD src0_sel:WORD_1
	s_lshl_b32 s4, s17, 6
	s_and_b64 s[2:3], s[2:3], s[0:1]
	v_add_u32_e32 v5, s4, v8
	v_cvt_pk_f16_f32 v7, v9, v7
	v_cndmask_b32_e64 v9, v76, 0, s[2:3]
	v_lshl_add_u32 v9, v5, 1, v9
	buffer_store_dwordx2 v[6:7], v9, s[8:11], 0 offen
	v_pk_add_f32 v[6:7], v[70:71], v[10:11]
	v_cvt_f32_f16_e32 v10, v83
	v_cvt_f32_f16_sdwa v11, v83 dst_sel:DWORD dst_unused:UNUSED_PAD src0_sel:WORD_1
	v_max_f32_e32 v7, 0, v7
	v_max_f32_e32 v6, 0, v6
	v_cmp_gt_i32_e64 s[2:3], s23, v81
	v_pk_add_f32 v[10:11], v[68:69], v[10:11]
	v_cvt_pk_f16_f32 v6, v6, v7
	v_max_f32_e32 v7, 0, v11
	v_max_f32_e32 v9, 0, v10
	s_and_b64 s[6:7], s[2:3], s[0:1]
	v_add_u32_e32 v5, s16, v5
	v_cvt_pk_f16_f32 v7, v9, v7
	v_cndmask_b32_e64 v9, v76, 0, s[6:7]
	v_cvt_f32_f16_e32 v10, v12
	v_cvt_f32_f16_sdwa v11, v12 dst_sel:DWORD dst_unused:UNUSED_PAD src0_sel:WORD_1
	v_lshl_add_u32 v9, v5, 1, v9
	buffer_store_dwordx2 v[6:7], v9, s[8:11], 0 offen
	v_add_u32_e32 v12, s16, v8
	v_cvt_f32_f16_e32 v8, v13
	v_cvt_f32_f16_sdwa v9, v13 dst_sel:DWORD dst_unused:UNUSED_PAD src0_sel:WORD_1
	v_pk_add_f32 v[6:7], v[66:67], v[10:11]
	s_and_b64 s[2:3], s[2:3], vcc
	v_max_f32_e32 v7, 0, v7
	v_max_f32_e32 v6, 0, v6
	v_pk_add_f32 v[8:9], v[64:65], v[8:9]
	v_cvt_pk_f16_f32 v6, v6, v7
	v_max_f32_e32 v7, 0, v9
	v_max_f32_e32 v8, 0, v8
	v_cvt_pk_f16_f32 v7, v8, v7
	v_cvt_f32_f16_e32 v8, v84
	v_cvt_f32_f16_sdwa v9, v84 dst_sel:DWORD dst_unused:UNUSED_PAD src0_sel:WORD_1
	v_cndmask_b32_e64 v10, v76, 0, s[2:3]
	v_lshl_add_u32 v10, v12, 1, v10
	buffer_store_dwordx2 v[6:7], v10, s[8:11], 0 offen
	v_pk_add_f32 v[6:7], v[62:63], v[8:9]
	v_cvt_f32_f16_e32 v8, v85
	v_cvt_f32_f16_sdwa v9, v85 dst_sel:DWORD dst_unused:UNUSED_PAD src0_sel:WORD_1
	v_max_f32_e32 v7, 0, v7
	v_max_f32_e32 v6, 0, v6
	v_cvt_pk_f16_f32 v6, v6, v7
	v_pk_add_f32 v[8:9], v[60:61], v[8:9]
	v_cmp_gt_i32_e64 s[2:3], s23, v110
	v_max_f32_e32 v7, 0, v9
	v_max_f32_e32 v8, 0, v8
	v_cvt_pk_f16_f32 v7, v8, v7
	v_cvt_f32_f16_e32 v8, v86
	v_cvt_f32_f16_sdwa v9, v86 dst_sel:DWORD dst_unused:UNUSED_PAD src0_sel:WORD_1
	s_and_b64 s[6:7], s[2:3], vcc
	v_add_u32_e32 v10, s16, v12
	v_cndmask_b32_e64 v11, v76, 0, s[6:7]
	v_lshl_add_u32 v10, v10, 1, v11
	buffer_store_dwordx2 v[6:7], v10, s[8:11], 0 offen
	v_pk_add_f32 v[6:7], v[58:59], v[8:9]
	v_cvt_f32_f16_e32 v8, v87
	v_cvt_f32_f16_sdwa v9, v87 dst_sel:DWORD dst_unused:UNUSED_PAD src0_sel:WORD_1
	v_max_f32_e32 v7, 0, v7
	v_max_f32_e32 v6, 0, v6
	v_cvt_pk_f16_f32 v6, v6, v7
	v_pk_add_f32 v[8:9], v[56:57], v[8:9]
	s_and_b64 s[2:3], s[2:3], s[0:1]
	v_max_f32_e32 v7, 0, v9
	v_max_f32_e32 v8, 0, v8
	v_cvt_pk_f16_f32 v7, v8, v7
	v_cvt_f32_f16_e32 v8, v92
	v_cvt_f32_f16_sdwa v9, v92 dst_sel:DWORD dst_unused:UNUSED_PAD src0_sel:WORD_1
	v_add_u32_e32 v5, s16, v5
	v_cndmask_b32_e64 v10, v76, 0, s[2:3]
	v_lshl_add_u32 v10, v5, 1, v10
	buffer_store_dwordx2 v[6:7], v10, s[8:11], 0 offen
	v_pk_add_f32 v[6:7], v[54:55], v[8:9]
	v_cvt_f32_f16_e32 v8, v93
	v_cvt_f32_f16_sdwa v9, v93 dst_sel:DWORD dst_unused:UNUSED_PAD src0_sel:WORD_1
	v_max_f32_e32 v7, 0, v7
	v_max_f32_e32 v6, 0, v6
	v_cvt_pk_f16_f32 v6, v6, v7
	v_pk_add_f32 v[8:9], v[52:53], v[8:9]
	v_cmp_gt_i32_e64 s[2:3], s23, v111
	v_max_f32_e32 v7, 0, v9
	v_max_f32_e32 v8, 0, v8
	v_cvt_pk_f16_f32 v7, v8, v7
	v_cvt_f32_f16_e32 v8, v90
	v_cvt_f32_f16_sdwa v9, v90 dst_sel:DWORD dst_unused:UNUSED_PAD src0_sel:WORD_1
	s_and_b64 s[6:7], s[2:3], s[0:1]
	v_add_u32_e32 v10, s16, v5
	v_cndmask_b32_e64 v11, v76, 0, s[6:7]
	v_lshl_add_u32 v11, v10, 1, v11
	buffer_store_dwordx2 v[6:7], v11, s[8:11], 0 offen
	v_pk_add_f32 v[6:7], v[50:51], v[8:9]
	v_cvt_f32_f16_e32 v8, v91
	v_cvt_f32_f16_sdwa v9, v91 dst_sel:DWORD dst_unused:UNUSED_PAD src0_sel:WORD_1
	v_max_f32_e32 v7, 0, v7
	v_max_f32_e32 v6, 0, v6
	v_cvt_pk_f16_f32 v6, v6, v7
	v_pk_add_f32 v[8:9], v[48:49], v[8:9]
	s_and_b64 s[2:3], s[2:3], vcc
	v_max_f32_e32 v7, 0, v9
	v_max_f32_e32 v8, 0, v8
	v_subrev_u32_e32 v11, s4, v10
	v_cvt_pk_f16_f32 v7, v8, v7
	v_cndmask_b32_e64 v8, v76, 0, s[2:3]
	v_lshl_add_u32 v12, v11, 1, v8
	v_cvt_f32_f16_e32 v8, v104
	v_cvt_f32_f16_sdwa v9, v104 dst_sel:DWORD dst_unused:UNUSED_PAD src0_sel:WORD_1
	buffer_store_dwordx2 v[6:7], v12, s[8:11], 0 offen
	v_cmp_gt_i32_e64 s[2:3], s23, v102
	s_lshl_b32 s5, s16, 6
	v_pk_add_f32 v[6:7], v[40:41], v[8:9]
	v_cvt_f32_f16_e32 v8, v103
	v_cvt_f32_f16_sdwa v9, v103 dst_sel:DWORD dst_unused:UNUSED_PAD src0_sel:WORD_1
	v_max_f32_e32 v7, 0, v7
	v_max_f32_e32 v6, 0, v6
	v_cvt_pk_f16_f32 v6, v6, v7
	v_pk_add_f32 v[8:9], v[46:47], v[8:9]
	s_and_b64 s[6:7], s[2:3], vcc
	v_max_f32_e32 v7, 0, v9
	v_max_f32_e32 v8, 0, v8
	v_cvt_pk_f16_f32 v7, v8, v7
	v_cvt_f32_f16_e32 v8, v106
	v_cvt_f32_f16_sdwa v9, v106 dst_sel:DWORD dst_unused:UNUSED_PAD src0_sel:WORD_1
	v_add_u32_e32 v11, s5, v11
	v_cndmask_b32_e64 v12, v76, 0, s[6:7]
	v_lshl_add_u32 v11, v11, 1, v12
	buffer_store_dwordx2 v[6:7], v11, s[8:11], 0 offen
	v_pk_add_f32 v[6:7], v[44:45], v[8:9]
	v_cvt_f32_f16_e32 v8, v105
	v_cvt_f32_f16_sdwa v9, v105 dst_sel:DWORD dst_unused:UNUSED_PAD src0_sel:WORD_1
	v_max_f32_e32 v7, 0, v7
	v_max_f32_e32 v6, 0, v6
	v_cvt_pk_f16_f32 v6, v6, v7
	v_pk_add_f32 v[8:9], v[42:43], v[8:9]
	s_and_b64 s[2:3], s[2:3], s[0:1]
	v_max_f32_e32 v7, 0, v9
	v_max_f32_e32 v8, 0, v8
	v_cvt_pk_f16_f32 v7, v8, v7
	v_cvt_f32_f16_e32 v8, v101
	v_cvt_f32_f16_sdwa v9, v101 dst_sel:DWORD dst_unused:UNUSED_PAD src0_sel:WORD_1
	v_add_u32_e32 v10, s5, v10
	v_cndmask_b32_e64 v11, v76, 0, s[2:3]
	v_lshl_add_u32 v10, v10, 1, v11
	buffer_store_dwordx2 v[6:7], v10, s[8:11], 0 offen
	v_pk_add_f32 v[6:7], v[38:39], v[8:9]
	v_cvt_f32_f16_e32 v8, v100
	v_cvt_f32_f16_sdwa v9, v100 dst_sel:DWORD dst_unused:UNUSED_PAD src0_sel:WORD_1
	v_max_f32_e32 v7, 0, v7
	v_max_f32_e32 v6, 0, v6
	v_cvt_pk_f16_f32 v6, v6, v7
	v_pk_add_f32 v[8:9], v[36:37], v[8:9]
	v_cmp_ge_i32_e64 s[2:3], s23, v102
	v_max_f32_e32 v7, 0, v9
	v_max_f32_e32 v8, 0, v8
	v_cvt_pk_f16_f32 v7, v8, v7
	v_cvt_f32_f16_e32 v8, v99
	v_cvt_f32_f16_sdwa v9, v99 dst_sel:DWORD dst_unused:UNUSED_PAD src0_sel:WORD_1
	s_and_b64 s[2:3], s[2:3], s[0:1]
	v_add_u32_e32 v5, s5, v5
	v_cndmask_b32_e64 v10, v76, 0, s[2:3]
	v_lshl_add_u32 v10, v5, 1, v10
	buffer_store_dwordx2 v[6:7], v10, s[8:11], 0 offen
	v_pk_add_f32 v[6:7], v[34:35], v[8:9]
	v_cvt_f32_f16_e32 v8, v98
	v_cvt_f32_f16_sdwa v9, v98 dst_sel:DWORD dst_unused:UNUSED_PAD src0_sel:WORD_1
	v_max_f32_e32 v7, 0, v7
	v_max_f32_e32 v6, 0, v6
	v_cvt_pk_f16_f32 v6, v6, v7
	v_pk_add_f32 v[8:9], v[32:33], v[8:9]
	v_cmp_gt_i32_e64 s[2:3], s23, v97
	v_max_f32_e32 v7, 0, v9
	v_max_f32_e32 v8, 0, v8
	v_cvt_pk_f16_f32 v7, v8, v7
	v_cvt_f32_f16_e32 v8, v88
	v_cvt_f32_f16_sdwa v9, v88 dst_sel:DWORD dst_unused:UNUSED_PAD src0_sel:WORD_1
	s_and_b64 s[2:3], s[2:3], vcc
	v_subrev_u32_e32 v5, s4, v5
	v_cndmask_b32_e64 v10, v76, 0, s[2:3]
	v_lshl_add_u32 v10, v5, 1, v10
	buffer_store_dwordx2 v[6:7], v10, s[8:11], 0 offen
	v_pk_add_f32 v[6:7], v[30:31], v[8:9]
	v_cvt_f32_f16_e32 v8, v89
	v_cvt_f32_f16_sdwa v9, v89 dst_sel:DWORD dst_unused:UNUSED_PAD src0_sel:WORD_1
	v_max_f32_e32 v7, 0, v7
	v_max_f32_e32 v6, 0, v6
	v_cvt_pk_f16_f32 v6, v6, v7
	v_pk_add_f32 v[8:9], v[28:29], v[8:9]
	v_cmp_ge_i32_e64 s[2:3], s23, v97
	v_max_f32_e32 v7, 0, v9
	v_max_f32_e32 v8, 0, v8
	v_cvt_pk_f16_f32 v7, v8, v7
	v_cvt_f32_f16_e32 v8, v96
	v_cvt_f32_f16_sdwa v9, v96 dst_sel:DWORD dst_unused:UNUSED_PAD src0_sel:WORD_1
	s_and_b64 s[2:3], s[2:3], vcc
	v_subrev_u32_e32 v5, s16, v5
	v_cndmask_b32_e64 v10, v76, 0, s[2:3]
	v_lshl_add_u32 v10, v5, 1, v10
	buffer_store_dwordx2 v[6:7], v10, s[8:11], 0 offen
	v_pk_add_f32 v[6:7], v[26:27], v[8:9]
	v_cvt_f32_f16_e32 v8, v95
	v_cvt_f32_f16_sdwa v9, v95 dst_sel:DWORD dst_unused:UNUSED_PAD src0_sel:WORD_1
	v_max_f32_e32 v7, 0, v7
	v_max_f32_e32 v6, 0, v6
	v_cvt_pk_f16_f32 v6, v6, v7
	v_pk_add_f32 v[8:9], v[24:25], v[8:9]
	v_cmp_gt_i32_e64 s[2:3], s23, v3
	v_max_f32_e32 v7, 0, v9
	v_max_f32_e32 v8, 0, v8
	v_cvt_pk_f16_f32 v7, v8, v7
	v_cvt_f32_f16_e32 v8, v94
	v_cvt_f32_f16_sdwa v9, v94 dst_sel:DWORD dst_unused:UNUSED_PAD src0_sel:WORD_1
	s_and_b64 s[2:3], s[2:3], s[0:1]
	v_add_u32_e32 v5, s4, v5
	v_cndmask_b32_e64 v10, v76, 0, s[2:3]
	v_lshl_add_u32 v10, v5, 1, v10
	buffer_store_dwordx2 v[6:7], v10, s[8:11], 0 offen
	v_pk_add_f32 v[6:7], v[22:23], v[8:9]
	v_cvt_f32_f16_e32 v8, v4
	v_cvt_f32_f16_sdwa v9, v4 dst_sel:DWORD dst_unused:UNUSED_PAD src0_sel:WORD_1
	v_cmp_ge_i32_e64 s[2:3], s23, v3
	v_subrev_u32_e32 v10, s16, v5
	v_max_f32_e32 v4, 0, v7
	v_max_f32_e32 v5, 0, v6
	v_pk_add_f32 v[6:7], v[20:21], v[8:9]
	s_and_b64 s[0:1], s[2:3], s[0:1]
	v_cvt_pk_f16_f32 v4, v5, v4
	v_max_f32_e32 v5, 0, v7
	v_max_f32_e32 v6, 0, v6
	v_cndmask_b32_e64 v3, v76, 0, s[0:1]
	v_cvt_pk_f16_f32 v5, v6, v5
	v_cvt_f32_f16_e32 v6, v2
	v_cvt_f32_f16_sdwa v7, v2 dst_sel:DWORD dst_unused:UNUSED_PAD src0_sel:WORD_1
	v_lshl_add_u32 v2, v10, 1, v3
	buffer_store_dwordx2 v[4:5], v2, s[8:11], 0 offen
	v_cvt_f32_f16_e32 v4, v1
	v_cvt_f32_f16_sdwa v5, v1 dst_sel:DWORD dst_unused:UNUSED_PAD src0_sel:WORD_1
	v_pk_add_f32 v[2:3], v[18:19], v[6:7]
	v_cmp_gt_i32_e64 s[0:1], s23, v0
	v_max_f32_e32 v1, 0, v3
	v_max_f32_e32 v2, 0, v2
	v_pk_add_f32 v[4:5], v[16:17], v[4:5]
	s_and_b64 s[0:1], s[0:1], vcc
	v_subrev_u32_e32 v8, s4, v10
	v_cvt_pk_f16_f32 v2, v2, v1
	v_max_f32_e32 v1, 0, v5
	v_max_f32_e32 v3, 0, v4
	v_cndmask_b32_e64 v0, v76, 0, s[0:1]
	v_cvt_pk_f16_f32 v3, v3, v1
	v_lshl_add_u32 v0, v8, 1, v0
	buffer_store_dwordx2 v[2:3], v0, s[8:11], 0 offen
	s_endpgm
	.section	.rodata,"a",@progbits
	.p2align	6, 0x0
	.amdhsa_kernel _ZN2ck16tensor_operation6device12_GLOBAL__N_137kernel_grouped_conv_fwd_dl_multiple_dINS_32GridwiseGemmDlMultipleD_km_kn_mnILi256EDF16_fNS_5TupleIJDF16_EEEDF16_NS0_12element_wise11PassThroughES8_NS7_7AddReluELNS_25InMemoryDataOperationEnumE0ENS_16TensorDescriptorINS5_IJNS_5EmbedINS5_IJiiiiiEEESD_Lb0EEENS_11PassThroughIiEENS_3PadIiiiLb0EEESI_SI_SG_SG_NSC_INS5_IJiiEEESJ_Lb0EEESK_SK_SG_NS_23Merge_v2_magic_divisionINS5_IJiiiiEEEEESN_NS_8RightPadIiiLb0EEESP_NS_7UnMergeISJ_Lb0EEESG_EEENS5_IJNS_8SequenceIJLi0EEEENST_IJLi1EEEENST_IJLi2EEEENST_IJLi3EEEENST_IJLi4EEEENST_IJLi5EEEENST_IJLi6EEEENST_IJLi7EEEENST_IJLi8EEEENST_IJLi9EEEENST_IJLi10EEEENST_IJLi11ELi13ELi15ELi17EEEENST_IJLi12ELi14ELi16ELi18EEEENST_IJLi19EEEENST_IJLi20EEEENST_IJLi22EEEENST_IJLi21EEEEEEENS5_IJNST_IJLi1ELi2ELi3ELi4ELi5EEEES10_S11_S12_S13_S14_NST_IJLi11EEEENST_IJLi12ELi13EEEENST_IJLi14ELi15EEEENST_IJLi16ELi17EEEENST_IJLi18EEEES17_S18_S1A_S19_NST_IJLi23ELi24EEEENST_IJLi25EEEEEEENST_IJLi23ELi25ELi24EEEElEENSB_INS5_IJSR_SP_SP_SR_SG_EEENS5_IJSU_SV_SW_SY_SX_EEENS5_IJNST_IJLi1ELi2EEEESX_SY_NST_IJLi5ELi6EEEES11_EEENST_IJLi5ELi7ELi6EEEElEENSB_INS5_IJSK_SP_SP_EEENS5_IJSU_SV_SW_EEENS5_IJS1P_SX_SY_EEENST_IJLi3ELi4EEEElEELi128ELi128ELi16ELi2ELi4ELi4ELi1ENST_IJLi8ELi2EEEES1Z_NST_IJLi8ELi1ELi1ELi2EEEENST_IJLi2ELi1ELi128ELi1EEEENST_IJLi1ELi2ELi0ELi3EEEES22_NST_IJLi4ELi1ELi1ELi2EEEES22_NST_IJLi1ELi1ELi1ELi2EEEES20_S21_S22_S22_S23_S22_S24_NST_IJLi0ELi1ELi2ELi3ELi4ELi5EEEELi5ELi4EEEDF16_NS5_IJPKDF16_EEEDF16_S8_S8_S9_NSB_INS5_IJSE_SG_SI_SI_SI_SG_SG_SK_SK_SK_SG_SN_SN_SP_SP_SR_SG_SG_NSQ_INS5_IJiNS_17integral_constantIiLi128EEEEEELb0EEENSF_INS2A_IiLi2EEEEEEEENS5_IJSU_SV_SW_SX_SY_SZ_S10_S11_S12_S13_S14_S15_S16_S17_S18_S19_S1A_NST_IJLi23EEEES1J_NST_IJLi24EEEEEEENS5_IJS1C_S10_S11_S12_S13_S14_S1D_S1E_S1F_S1G_S1H_S17_S18_S1A_S19_S1I_S1J_NST_IJLi26EEEENST_IJLi27ELi28EEEENST_IJLi29EEEEEEENST_IJLi26ELi27ELi28ELi29EEEElEENSB_INS5_IJSR_SP_SP_SR_SG_SG_S2D_S2F_EEENS5_IJSU_SV_SW_SY_SX_SZ_S11_S10_EEENS5_IJS1P_SX_SY_S1Q_S11_S12_NST_IJLi9ELi10EEEES1D_EEENST_IJLi8ELi9ELi10ELi11EEEElEENS5_IJNSB_INS5_IJSK_SP_SP_NSQ_INS5_IJiS2E_NS2A_IiLi64EEEEEELb0EEES2Y_EEENS5_IJSU_SV_SW_SX_SY_EEENS5_IJS1P_SX_SY_NST_IJLi5ELi6ELi7EEEENST_IJLi8ELi9ELi10EEEEEEENST_IJLi5ELi6ELi7ELi8ELi9ELi10EEEElEEEEES35_NS_31BlockToCTileMap_M00_N00_M01_N01ILi128ELi128ES1Y_Lb0EEENS1_30ComputePtrOffsetOfStridedBatchILi1ELi1ELi1EvEELb1ELb0EEEvPKT0_S3D_T1_PT2_T3_T4_T5_iT6_T7_T8_T9_T10_T11_
		.amdhsa_group_segment_fixed_size 32768
		.amdhsa_private_segment_fixed_size 0
		.amdhsa_kernarg_size 1024
		.amdhsa_user_sgpr_count 2
		.amdhsa_user_sgpr_dispatch_ptr 0
		.amdhsa_user_sgpr_queue_ptr 0
		.amdhsa_user_sgpr_kernarg_segment_ptr 1
		.amdhsa_user_sgpr_dispatch_id 0
		.amdhsa_user_sgpr_kernarg_preload_length 0
		.amdhsa_user_sgpr_kernarg_preload_offset 0
		.amdhsa_user_sgpr_private_segment_size 0
		.amdhsa_uses_dynamic_stack 0
		.amdhsa_enable_private_segment 0
		.amdhsa_system_sgpr_workgroup_id_x 1
		.amdhsa_system_sgpr_workgroup_id_y 0
		.amdhsa_system_sgpr_workgroup_id_z 0
		.amdhsa_system_sgpr_workgroup_info 0
		.amdhsa_system_vgpr_workitem_id 0
		.amdhsa_next_free_vgpr 136
		.amdhsa_next_free_sgpr 96
		.amdhsa_accum_offset 136
		.amdhsa_reserve_vcc 1
		.amdhsa_float_round_mode_32 0
		.amdhsa_float_round_mode_16_64 0
		.amdhsa_float_denorm_mode_32 3
		.amdhsa_float_denorm_mode_16_64 3
		.amdhsa_dx10_clamp 1
		.amdhsa_ieee_mode 1
		.amdhsa_fp16_overflow 0
		.amdhsa_tg_split 0
		.amdhsa_exception_fp_ieee_invalid_op 0
		.amdhsa_exception_fp_denorm_src 0
		.amdhsa_exception_fp_ieee_div_zero 0
		.amdhsa_exception_fp_ieee_overflow 0
		.amdhsa_exception_fp_ieee_underflow 0
		.amdhsa_exception_fp_ieee_inexact 0
		.amdhsa_exception_int_div_zero 0
	.end_amdhsa_kernel
	.section	.text._ZN2ck16tensor_operation6device12_GLOBAL__N_137kernel_grouped_conv_fwd_dl_multiple_dINS_32GridwiseGemmDlMultipleD_km_kn_mnILi256EDF16_fNS_5TupleIJDF16_EEEDF16_NS0_12element_wise11PassThroughES8_NS7_7AddReluELNS_25InMemoryDataOperationEnumE0ENS_16TensorDescriptorINS5_IJNS_5EmbedINS5_IJiiiiiEEESD_Lb0EEENS_11PassThroughIiEENS_3PadIiiiLb0EEESI_SI_SG_SG_NSC_INS5_IJiiEEESJ_Lb0EEESK_SK_SG_NS_23Merge_v2_magic_divisionINS5_IJiiiiEEEEESN_NS_8RightPadIiiLb0EEESP_NS_7UnMergeISJ_Lb0EEESG_EEENS5_IJNS_8SequenceIJLi0EEEENST_IJLi1EEEENST_IJLi2EEEENST_IJLi3EEEENST_IJLi4EEEENST_IJLi5EEEENST_IJLi6EEEENST_IJLi7EEEENST_IJLi8EEEENST_IJLi9EEEENST_IJLi10EEEENST_IJLi11ELi13ELi15ELi17EEEENST_IJLi12ELi14ELi16ELi18EEEENST_IJLi19EEEENST_IJLi20EEEENST_IJLi22EEEENST_IJLi21EEEEEEENS5_IJNST_IJLi1ELi2ELi3ELi4ELi5EEEES10_S11_S12_S13_S14_NST_IJLi11EEEENST_IJLi12ELi13EEEENST_IJLi14ELi15EEEENST_IJLi16ELi17EEEENST_IJLi18EEEES17_S18_S1A_S19_NST_IJLi23ELi24EEEENST_IJLi25EEEEEEENST_IJLi23ELi25ELi24EEEElEENSB_INS5_IJSR_SP_SP_SR_SG_EEENS5_IJSU_SV_SW_SY_SX_EEENS5_IJNST_IJLi1ELi2EEEESX_SY_NST_IJLi5ELi6EEEES11_EEENST_IJLi5ELi7ELi6EEEElEENSB_INS5_IJSK_SP_SP_EEENS5_IJSU_SV_SW_EEENS5_IJS1P_SX_SY_EEENST_IJLi3ELi4EEEElEELi128ELi128ELi16ELi2ELi4ELi4ELi1ENST_IJLi8ELi2EEEES1Z_NST_IJLi8ELi1ELi1ELi2EEEENST_IJLi2ELi1ELi128ELi1EEEENST_IJLi1ELi2ELi0ELi3EEEES22_NST_IJLi4ELi1ELi1ELi2EEEES22_NST_IJLi1ELi1ELi1ELi2EEEES20_S21_S22_S22_S23_S22_S24_NST_IJLi0ELi1ELi2ELi3ELi4ELi5EEEELi5ELi4EEEDF16_NS5_IJPKDF16_EEEDF16_S8_S8_S9_NSB_INS5_IJSE_SG_SI_SI_SI_SG_SG_SK_SK_SK_SG_SN_SN_SP_SP_SR_SG_SG_NSQ_INS5_IJiNS_17integral_constantIiLi128EEEEEELb0EEENSF_INS2A_IiLi2EEEEEEEENS5_IJSU_SV_SW_SX_SY_SZ_S10_S11_S12_S13_S14_S15_S16_S17_S18_S19_S1A_NST_IJLi23EEEES1J_NST_IJLi24EEEEEEENS5_IJS1C_S10_S11_S12_S13_S14_S1D_S1E_S1F_S1G_S1H_S17_S18_S1A_S19_S1I_S1J_NST_IJLi26EEEENST_IJLi27ELi28EEEENST_IJLi29EEEEEEENST_IJLi26ELi27ELi28ELi29EEEElEENSB_INS5_IJSR_SP_SP_SR_SG_SG_S2D_S2F_EEENS5_IJSU_SV_SW_SY_SX_SZ_S11_S10_EEENS5_IJS1P_SX_SY_S1Q_S11_S12_NST_IJLi9ELi10EEEES1D_EEENST_IJLi8ELi9ELi10ELi11EEEElEENS5_IJNSB_INS5_IJSK_SP_SP_NSQ_INS5_IJiS2E_NS2A_IiLi64EEEEEELb0EEES2Y_EEENS5_IJSU_SV_SW_SX_SY_EEENS5_IJS1P_SX_SY_NST_IJLi5ELi6ELi7EEEENST_IJLi8ELi9ELi10EEEEEEENST_IJLi5ELi6ELi7ELi8ELi9ELi10EEEElEEEEES35_NS_31BlockToCTileMap_M00_N00_M01_N01ILi128ELi128ES1Y_Lb0EEENS1_30ComputePtrOffsetOfStridedBatchILi1ELi1ELi1EvEELb1ELb0EEEvPKT0_S3D_T1_PT2_T3_T4_T5_iT6_T7_T8_T9_T10_T11_,"axG",@progbits,_ZN2ck16tensor_operation6device12_GLOBAL__N_137kernel_grouped_conv_fwd_dl_multiple_dINS_32GridwiseGemmDlMultipleD_km_kn_mnILi256EDF16_fNS_5TupleIJDF16_EEEDF16_NS0_12element_wise11PassThroughES8_NS7_7AddReluELNS_25InMemoryDataOperationEnumE0ENS_16TensorDescriptorINS5_IJNS_5EmbedINS5_IJiiiiiEEESD_Lb0EEENS_11PassThroughIiEENS_3PadIiiiLb0EEESI_SI_SG_SG_NSC_INS5_IJiiEEESJ_Lb0EEESK_SK_SG_NS_23Merge_v2_magic_divisionINS5_IJiiiiEEEEESN_NS_8RightPadIiiLb0EEESP_NS_7UnMergeISJ_Lb0EEESG_EEENS5_IJNS_8SequenceIJLi0EEEENST_IJLi1EEEENST_IJLi2EEEENST_IJLi3EEEENST_IJLi4EEEENST_IJLi5EEEENST_IJLi6EEEENST_IJLi7EEEENST_IJLi8EEEENST_IJLi9EEEENST_IJLi10EEEENST_IJLi11ELi13ELi15ELi17EEEENST_IJLi12ELi14ELi16ELi18EEEENST_IJLi19EEEENST_IJLi20EEEENST_IJLi22EEEENST_IJLi21EEEEEEENS5_IJNST_IJLi1ELi2ELi3ELi4ELi5EEEES10_S11_S12_S13_S14_NST_IJLi11EEEENST_IJLi12ELi13EEEENST_IJLi14ELi15EEEENST_IJLi16ELi17EEEENST_IJLi18EEEES17_S18_S1A_S19_NST_IJLi23ELi24EEEENST_IJLi25EEEEEEENST_IJLi23ELi25ELi24EEEElEENSB_INS5_IJSR_SP_SP_SR_SG_EEENS5_IJSU_SV_SW_SY_SX_EEENS5_IJNST_IJLi1ELi2EEEESX_SY_NST_IJLi5ELi6EEEES11_EEENST_IJLi5ELi7ELi6EEEElEENSB_INS5_IJSK_SP_SP_EEENS5_IJSU_SV_SW_EEENS5_IJS1P_SX_SY_EEENST_IJLi3ELi4EEEElEELi128ELi128ELi16ELi2ELi4ELi4ELi1ENST_IJLi8ELi2EEEES1Z_NST_IJLi8ELi1ELi1ELi2EEEENST_IJLi2ELi1ELi128ELi1EEEENST_IJLi1ELi2ELi0ELi3EEEES22_NST_IJLi4ELi1ELi1ELi2EEEES22_NST_IJLi1ELi1ELi1ELi2EEEES20_S21_S22_S22_S23_S22_S24_NST_IJLi0ELi1ELi2ELi3ELi4ELi5EEEELi5ELi4EEEDF16_NS5_IJPKDF16_EEEDF16_S8_S8_S9_NSB_INS5_IJSE_SG_SI_SI_SI_SG_SG_SK_SK_SK_SG_SN_SN_SP_SP_SR_SG_SG_NSQ_INS5_IJiNS_17integral_constantIiLi128EEEEEELb0EEENSF_INS2A_IiLi2EEEEEEEENS5_IJSU_SV_SW_SX_SY_SZ_S10_S11_S12_S13_S14_S15_S16_S17_S18_S19_S1A_NST_IJLi23EEEES1J_NST_IJLi24EEEEEEENS5_IJS1C_S10_S11_S12_S13_S14_S1D_S1E_S1F_S1G_S1H_S17_S18_S1A_S19_S1I_S1J_NST_IJLi26EEEENST_IJLi27ELi28EEEENST_IJLi29EEEEEEENST_IJLi26ELi27ELi28ELi29EEEElEENSB_INS5_IJSR_SP_SP_SR_SG_SG_S2D_S2F_EEENS5_IJSU_SV_SW_SY_SX_SZ_S11_S10_EEENS5_IJS1P_SX_SY_S1Q_S11_S12_NST_IJLi9ELi10EEEES1D_EEENST_IJLi8ELi9ELi10ELi11EEEElEENS5_IJNSB_INS5_IJSK_SP_SP_NSQ_INS5_IJiS2E_NS2A_IiLi64EEEEEELb0EEES2Y_EEENS5_IJSU_SV_SW_SX_SY_EEENS5_IJS1P_SX_SY_NST_IJLi5ELi6ELi7EEEENST_IJLi8ELi9ELi10EEEEEEENST_IJLi5ELi6ELi7ELi8ELi9ELi10EEEElEEEEES35_NS_31BlockToCTileMap_M00_N00_M01_N01ILi128ELi128ES1Y_Lb0EEENS1_30ComputePtrOffsetOfStridedBatchILi1ELi1ELi1EvEELb1ELb0EEEvPKT0_S3D_T1_PT2_T3_T4_T5_iT6_T7_T8_T9_T10_T11_,comdat
.Lfunc_end10:
	.size	_ZN2ck16tensor_operation6device12_GLOBAL__N_137kernel_grouped_conv_fwd_dl_multiple_dINS_32GridwiseGemmDlMultipleD_km_kn_mnILi256EDF16_fNS_5TupleIJDF16_EEEDF16_NS0_12element_wise11PassThroughES8_NS7_7AddReluELNS_25InMemoryDataOperationEnumE0ENS_16TensorDescriptorINS5_IJNS_5EmbedINS5_IJiiiiiEEESD_Lb0EEENS_11PassThroughIiEENS_3PadIiiiLb0EEESI_SI_SG_SG_NSC_INS5_IJiiEEESJ_Lb0EEESK_SK_SG_NS_23Merge_v2_magic_divisionINS5_IJiiiiEEEEESN_NS_8RightPadIiiLb0EEESP_NS_7UnMergeISJ_Lb0EEESG_EEENS5_IJNS_8SequenceIJLi0EEEENST_IJLi1EEEENST_IJLi2EEEENST_IJLi3EEEENST_IJLi4EEEENST_IJLi5EEEENST_IJLi6EEEENST_IJLi7EEEENST_IJLi8EEEENST_IJLi9EEEENST_IJLi10EEEENST_IJLi11ELi13ELi15ELi17EEEENST_IJLi12ELi14ELi16ELi18EEEENST_IJLi19EEEENST_IJLi20EEEENST_IJLi22EEEENST_IJLi21EEEEEEENS5_IJNST_IJLi1ELi2ELi3ELi4ELi5EEEES10_S11_S12_S13_S14_NST_IJLi11EEEENST_IJLi12ELi13EEEENST_IJLi14ELi15EEEENST_IJLi16ELi17EEEENST_IJLi18EEEES17_S18_S1A_S19_NST_IJLi23ELi24EEEENST_IJLi25EEEEEEENST_IJLi23ELi25ELi24EEEElEENSB_INS5_IJSR_SP_SP_SR_SG_EEENS5_IJSU_SV_SW_SY_SX_EEENS5_IJNST_IJLi1ELi2EEEESX_SY_NST_IJLi5ELi6EEEES11_EEENST_IJLi5ELi7ELi6EEEElEENSB_INS5_IJSK_SP_SP_EEENS5_IJSU_SV_SW_EEENS5_IJS1P_SX_SY_EEENST_IJLi3ELi4EEEElEELi128ELi128ELi16ELi2ELi4ELi4ELi1ENST_IJLi8ELi2EEEES1Z_NST_IJLi8ELi1ELi1ELi2EEEENST_IJLi2ELi1ELi128ELi1EEEENST_IJLi1ELi2ELi0ELi3EEEES22_NST_IJLi4ELi1ELi1ELi2EEEES22_NST_IJLi1ELi1ELi1ELi2EEEES20_S21_S22_S22_S23_S22_S24_NST_IJLi0ELi1ELi2ELi3ELi4ELi5EEEELi5ELi4EEEDF16_NS5_IJPKDF16_EEEDF16_S8_S8_S9_NSB_INS5_IJSE_SG_SI_SI_SI_SG_SG_SK_SK_SK_SG_SN_SN_SP_SP_SR_SG_SG_NSQ_INS5_IJiNS_17integral_constantIiLi128EEEEEELb0EEENSF_INS2A_IiLi2EEEEEEEENS5_IJSU_SV_SW_SX_SY_SZ_S10_S11_S12_S13_S14_S15_S16_S17_S18_S19_S1A_NST_IJLi23EEEES1J_NST_IJLi24EEEEEEENS5_IJS1C_S10_S11_S12_S13_S14_S1D_S1E_S1F_S1G_S1H_S17_S18_S1A_S19_S1I_S1J_NST_IJLi26EEEENST_IJLi27ELi28EEEENST_IJLi29EEEEEEENST_IJLi26ELi27ELi28ELi29EEEElEENSB_INS5_IJSR_SP_SP_SR_SG_SG_S2D_S2F_EEENS5_IJSU_SV_SW_SY_SX_SZ_S11_S10_EEENS5_IJS1P_SX_SY_S1Q_S11_S12_NST_IJLi9ELi10EEEES1D_EEENST_IJLi8ELi9ELi10ELi11EEEElEENS5_IJNSB_INS5_IJSK_SP_SP_NSQ_INS5_IJiS2E_NS2A_IiLi64EEEEEELb0EEES2Y_EEENS5_IJSU_SV_SW_SX_SY_EEENS5_IJS1P_SX_SY_NST_IJLi5ELi6ELi7EEEENST_IJLi8ELi9ELi10EEEEEEENST_IJLi5ELi6ELi7ELi8ELi9ELi10EEEElEEEEES35_NS_31BlockToCTileMap_M00_N00_M01_N01ILi128ELi128ES1Y_Lb0EEENS1_30ComputePtrOffsetOfStridedBatchILi1ELi1ELi1EvEELb1ELb0EEEvPKT0_S3D_T1_PT2_T3_T4_T5_iT6_T7_T8_T9_T10_T11_, .Lfunc_end10-_ZN2ck16tensor_operation6device12_GLOBAL__N_137kernel_grouped_conv_fwd_dl_multiple_dINS_32GridwiseGemmDlMultipleD_km_kn_mnILi256EDF16_fNS_5TupleIJDF16_EEEDF16_NS0_12element_wise11PassThroughES8_NS7_7AddReluELNS_25InMemoryDataOperationEnumE0ENS_16TensorDescriptorINS5_IJNS_5EmbedINS5_IJiiiiiEEESD_Lb0EEENS_11PassThroughIiEENS_3PadIiiiLb0EEESI_SI_SG_SG_NSC_INS5_IJiiEEESJ_Lb0EEESK_SK_SG_NS_23Merge_v2_magic_divisionINS5_IJiiiiEEEEESN_NS_8RightPadIiiLb0EEESP_NS_7UnMergeISJ_Lb0EEESG_EEENS5_IJNS_8SequenceIJLi0EEEENST_IJLi1EEEENST_IJLi2EEEENST_IJLi3EEEENST_IJLi4EEEENST_IJLi5EEEENST_IJLi6EEEENST_IJLi7EEEENST_IJLi8EEEENST_IJLi9EEEENST_IJLi10EEEENST_IJLi11ELi13ELi15ELi17EEEENST_IJLi12ELi14ELi16ELi18EEEENST_IJLi19EEEENST_IJLi20EEEENST_IJLi22EEEENST_IJLi21EEEEEEENS5_IJNST_IJLi1ELi2ELi3ELi4ELi5EEEES10_S11_S12_S13_S14_NST_IJLi11EEEENST_IJLi12ELi13EEEENST_IJLi14ELi15EEEENST_IJLi16ELi17EEEENST_IJLi18EEEES17_S18_S1A_S19_NST_IJLi23ELi24EEEENST_IJLi25EEEEEEENST_IJLi23ELi25ELi24EEEElEENSB_INS5_IJSR_SP_SP_SR_SG_EEENS5_IJSU_SV_SW_SY_SX_EEENS5_IJNST_IJLi1ELi2EEEESX_SY_NST_IJLi5ELi6EEEES11_EEENST_IJLi5ELi7ELi6EEEElEENSB_INS5_IJSK_SP_SP_EEENS5_IJSU_SV_SW_EEENS5_IJS1P_SX_SY_EEENST_IJLi3ELi4EEEElEELi128ELi128ELi16ELi2ELi4ELi4ELi1ENST_IJLi8ELi2EEEES1Z_NST_IJLi8ELi1ELi1ELi2EEEENST_IJLi2ELi1ELi128ELi1EEEENST_IJLi1ELi2ELi0ELi3EEEES22_NST_IJLi4ELi1ELi1ELi2EEEES22_NST_IJLi1ELi1ELi1ELi2EEEES20_S21_S22_S22_S23_S22_S24_NST_IJLi0ELi1ELi2ELi3ELi4ELi5EEEELi5ELi4EEEDF16_NS5_IJPKDF16_EEEDF16_S8_S8_S9_NSB_INS5_IJSE_SG_SI_SI_SI_SG_SG_SK_SK_SK_SG_SN_SN_SP_SP_SR_SG_SG_NSQ_INS5_IJiNS_17integral_constantIiLi128EEEEEELb0EEENSF_INS2A_IiLi2EEEEEEEENS5_IJSU_SV_SW_SX_SY_SZ_S10_S11_S12_S13_S14_S15_S16_S17_S18_S19_S1A_NST_IJLi23EEEES1J_NST_IJLi24EEEEEEENS5_IJS1C_S10_S11_S12_S13_S14_S1D_S1E_S1F_S1G_S1H_S17_S18_S1A_S19_S1I_S1J_NST_IJLi26EEEENST_IJLi27ELi28EEEENST_IJLi29EEEEEEENST_IJLi26ELi27ELi28ELi29EEEElEENSB_INS5_IJSR_SP_SP_SR_SG_SG_S2D_S2F_EEENS5_IJSU_SV_SW_SY_SX_SZ_S11_S10_EEENS5_IJS1P_SX_SY_S1Q_S11_S12_NST_IJLi9ELi10EEEES1D_EEENST_IJLi8ELi9ELi10ELi11EEEElEENS5_IJNSB_INS5_IJSK_SP_SP_NSQ_INS5_IJiS2E_NS2A_IiLi64EEEEEELb0EEES2Y_EEENS5_IJSU_SV_SW_SX_SY_EEENS5_IJS1P_SX_SY_NST_IJLi5ELi6ELi7EEEENST_IJLi8ELi9ELi10EEEEEEENST_IJLi5ELi6ELi7ELi8ELi9ELi10EEEElEEEEES35_NS_31BlockToCTileMap_M00_N00_M01_N01ILi128ELi128ES1Y_Lb0EEENS1_30ComputePtrOffsetOfStridedBatchILi1ELi1ELi1EvEELb1ELb0EEEvPKT0_S3D_T1_PT2_T3_T4_T5_iT6_T7_T8_T9_T10_T11_
                                        ; -- End function
	.set _ZN2ck16tensor_operation6device12_GLOBAL__N_137kernel_grouped_conv_fwd_dl_multiple_dINS_32GridwiseGemmDlMultipleD_km_kn_mnILi256EDF16_fNS_5TupleIJDF16_EEEDF16_NS0_12element_wise11PassThroughES8_NS7_7AddReluELNS_25InMemoryDataOperationEnumE0ENS_16TensorDescriptorINS5_IJNS_5EmbedINS5_IJiiiiiEEESD_Lb0EEENS_11PassThroughIiEENS_3PadIiiiLb0EEESI_SI_SG_SG_NSC_INS5_IJiiEEESJ_Lb0EEESK_SK_SG_NS_23Merge_v2_magic_divisionINS5_IJiiiiEEEEESN_NS_8RightPadIiiLb0EEESP_NS_7UnMergeISJ_Lb0EEESG_EEENS5_IJNS_8SequenceIJLi0EEEENST_IJLi1EEEENST_IJLi2EEEENST_IJLi3EEEENST_IJLi4EEEENST_IJLi5EEEENST_IJLi6EEEENST_IJLi7EEEENST_IJLi8EEEENST_IJLi9EEEENST_IJLi10EEEENST_IJLi11ELi13ELi15ELi17EEEENST_IJLi12ELi14ELi16ELi18EEEENST_IJLi19EEEENST_IJLi20EEEENST_IJLi22EEEENST_IJLi21EEEEEEENS5_IJNST_IJLi1ELi2ELi3ELi4ELi5EEEES10_S11_S12_S13_S14_NST_IJLi11EEEENST_IJLi12ELi13EEEENST_IJLi14ELi15EEEENST_IJLi16ELi17EEEENST_IJLi18EEEES17_S18_S1A_S19_NST_IJLi23ELi24EEEENST_IJLi25EEEEEEENST_IJLi23ELi25ELi24EEEElEENSB_INS5_IJSR_SP_SP_SR_SG_EEENS5_IJSU_SV_SW_SY_SX_EEENS5_IJNST_IJLi1ELi2EEEESX_SY_NST_IJLi5ELi6EEEES11_EEENST_IJLi5ELi7ELi6EEEElEENSB_INS5_IJSK_SP_SP_EEENS5_IJSU_SV_SW_EEENS5_IJS1P_SX_SY_EEENST_IJLi3ELi4EEEElEELi128ELi128ELi16ELi2ELi4ELi4ELi1ENST_IJLi8ELi2EEEES1Z_NST_IJLi8ELi1ELi1ELi2EEEENST_IJLi2ELi1ELi128ELi1EEEENST_IJLi1ELi2ELi0ELi3EEEES22_NST_IJLi4ELi1ELi1ELi2EEEES22_NST_IJLi1ELi1ELi1ELi2EEEES20_S21_S22_S22_S23_S22_S24_NST_IJLi0ELi1ELi2ELi3ELi4ELi5EEEELi5ELi4EEEDF16_NS5_IJPKDF16_EEEDF16_S8_S8_S9_NSB_INS5_IJSE_SG_SI_SI_SI_SG_SG_SK_SK_SK_SG_SN_SN_SP_SP_SR_SG_SG_NSQ_INS5_IJiNS_17integral_constantIiLi128EEEEEELb0EEENSF_INS2A_IiLi2EEEEEEEENS5_IJSU_SV_SW_SX_SY_SZ_S10_S11_S12_S13_S14_S15_S16_S17_S18_S19_S1A_NST_IJLi23EEEES1J_NST_IJLi24EEEEEEENS5_IJS1C_S10_S11_S12_S13_S14_S1D_S1E_S1F_S1G_S1H_S17_S18_S1A_S19_S1I_S1J_NST_IJLi26EEEENST_IJLi27ELi28EEEENST_IJLi29EEEEEEENST_IJLi26ELi27ELi28ELi29EEEElEENSB_INS5_IJSR_SP_SP_SR_SG_SG_S2D_S2F_EEENS5_IJSU_SV_SW_SY_SX_SZ_S11_S10_EEENS5_IJS1P_SX_SY_S1Q_S11_S12_NST_IJLi9ELi10EEEES1D_EEENST_IJLi8ELi9ELi10ELi11EEEElEENS5_IJNSB_INS5_IJSK_SP_SP_NSQ_INS5_IJiS2E_NS2A_IiLi64EEEEEELb0EEES2Y_EEENS5_IJSU_SV_SW_SX_SY_EEENS5_IJS1P_SX_SY_NST_IJLi5ELi6ELi7EEEENST_IJLi8ELi9ELi10EEEEEEENST_IJLi5ELi6ELi7ELi8ELi9ELi10EEEElEEEEES35_NS_31BlockToCTileMap_M00_N00_M01_N01ILi128ELi128ES1Y_Lb0EEENS1_30ComputePtrOffsetOfStridedBatchILi1ELi1ELi1EvEELb1ELb0EEEvPKT0_S3D_T1_PT2_T3_T4_T5_iT6_T7_T8_T9_T10_T11_.num_vgpr, 136
	.set _ZN2ck16tensor_operation6device12_GLOBAL__N_137kernel_grouped_conv_fwd_dl_multiple_dINS_32GridwiseGemmDlMultipleD_km_kn_mnILi256EDF16_fNS_5TupleIJDF16_EEEDF16_NS0_12element_wise11PassThroughES8_NS7_7AddReluELNS_25InMemoryDataOperationEnumE0ENS_16TensorDescriptorINS5_IJNS_5EmbedINS5_IJiiiiiEEESD_Lb0EEENS_11PassThroughIiEENS_3PadIiiiLb0EEESI_SI_SG_SG_NSC_INS5_IJiiEEESJ_Lb0EEESK_SK_SG_NS_23Merge_v2_magic_divisionINS5_IJiiiiEEEEESN_NS_8RightPadIiiLb0EEESP_NS_7UnMergeISJ_Lb0EEESG_EEENS5_IJNS_8SequenceIJLi0EEEENST_IJLi1EEEENST_IJLi2EEEENST_IJLi3EEEENST_IJLi4EEEENST_IJLi5EEEENST_IJLi6EEEENST_IJLi7EEEENST_IJLi8EEEENST_IJLi9EEEENST_IJLi10EEEENST_IJLi11ELi13ELi15ELi17EEEENST_IJLi12ELi14ELi16ELi18EEEENST_IJLi19EEEENST_IJLi20EEEENST_IJLi22EEEENST_IJLi21EEEEEEENS5_IJNST_IJLi1ELi2ELi3ELi4ELi5EEEES10_S11_S12_S13_S14_NST_IJLi11EEEENST_IJLi12ELi13EEEENST_IJLi14ELi15EEEENST_IJLi16ELi17EEEENST_IJLi18EEEES17_S18_S1A_S19_NST_IJLi23ELi24EEEENST_IJLi25EEEEEEENST_IJLi23ELi25ELi24EEEElEENSB_INS5_IJSR_SP_SP_SR_SG_EEENS5_IJSU_SV_SW_SY_SX_EEENS5_IJNST_IJLi1ELi2EEEESX_SY_NST_IJLi5ELi6EEEES11_EEENST_IJLi5ELi7ELi6EEEElEENSB_INS5_IJSK_SP_SP_EEENS5_IJSU_SV_SW_EEENS5_IJS1P_SX_SY_EEENST_IJLi3ELi4EEEElEELi128ELi128ELi16ELi2ELi4ELi4ELi1ENST_IJLi8ELi2EEEES1Z_NST_IJLi8ELi1ELi1ELi2EEEENST_IJLi2ELi1ELi128ELi1EEEENST_IJLi1ELi2ELi0ELi3EEEES22_NST_IJLi4ELi1ELi1ELi2EEEES22_NST_IJLi1ELi1ELi1ELi2EEEES20_S21_S22_S22_S23_S22_S24_NST_IJLi0ELi1ELi2ELi3ELi4ELi5EEEELi5ELi4EEEDF16_NS5_IJPKDF16_EEEDF16_S8_S8_S9_NSB_INS5_IJSE_SG_SI_SI_SI_SG_SG_SK_SK_SK_SG_SN_SN_SP_SP_SR_SG_SG_NSQ_INS5_IJiNS_17integral_constantIiLi128EEEEEELb0EEENSF_INS2A_IiLi2EEEEEEEENS5_IJSU_SV_SW_SX_SY_SZ_S10_S11_S12_S13_S14_S15_S16_S17_S18_S19_S1A_NST_IJLi23EEEES1J_NST_IJLi24EEEEEEENS5_IJS1C_S10_S11_S12_S13_S14_S1D_S1E_S1F_S1G_S1H_S17_S18_S1A_S19_S1I_S1J_NST_IJLi26EEEENST_IJLi27ELi28EEEENST_IJLi29EEEEEEENST_IJLi26ELi27ELi28ELi29EEEElEENSB_INS5_IJSR_SP_SP_SR_SG_SG_S2D_S2F_EEENS5_IJSU_SV_SW_SY_SX_SZ_S11_S10_EEENS5_IJS1P_SX_SY_S1Q_S11_S12_NST_IJLi9ELi10EEEES1D_EEENST_IJLi8ELi9ELi10ELi11EEEElEENS5_IJNSB_INS5_IJSK_SP_SP_NSQ_INS5_IJiS2E_NS2A_IiLi64EEEEEELb0EEES2Y_EEENS5_IJSU_SV_SW_SX_SY_EEENS5_IJS1P_SX_SY_NST_IJLi5ELi6ELi7EEEENST_IJLi8ELi9ELi10EEEEEEENST_IJLi5ELi6ELi7ELi8ELi9ELi10EEEElEEEEES35_NS_31BlockToCTileMap_M00_N00_M01_N01ILi128ELi128ES1Y_Lb0EEENS1_30ComputePtrOffsetOfStridedBatchILi1ELi1ELi1EvEELb1ELb0EEEvPKT0_S3D_T1_PT2_T3_T4_T5_iT6_T7_T8_T9_T10_T11_.num_agpr, 0
	.set _ZN2ck16tensor_operation6device12_GLOBAL__N_137kernel_grouped_conv_fwd_dl_multiple_dINS_32GridwiseGemmDlMultipleD_km_kn_mnILi256EDF16_fNS_5TupleIJDF16_EEEDF16_NS0_12element_wise11PassThroughES8_NS7_7AddReluELNS_25InMemoryDataOperationEnumE0ENS_16TensorDescriptorINS5_IJNS_5EmbedINS5_IJiiiiiEEESD_Lb0EEENS_11PassThroughIiEENS_3PadIiiiLb0EEESI_SI_SG_SG_NSC_INS5_IJiiEEESJ_Lb0EEESK_SK_SG_NS_23Merge_v2_magic_divisionINS5_IJiiiiEEEEESN_NS_8RightPadIiiLb0EEESP_NS_7UnMergeISJ_Lb0EEESG_EEENS5_IJNS_8SequenceIJLi0EEEENST_IJLi1EEEENST_IJLi2EEEENST_IJLi3EEEENST_IJLi4EEEENST_IJLi5EEEENST_IJLi6EEEENST_IJLi7EEEENST_IJLi8EEEENST_IJLi9EEEENST_IJLi10EEEENST_IJLi11ELi13ELi15ELi17EEEENST_IJLi12ELi14ELi16ELi18EEEENST_IJLi19EEEENST_IJLi20EEEENST_IJLi22EEEENST_IJLi21EEEEEEENS5_IJNST_IJLi1ELi2ELi3ELi4ELi5EEEES10_S11_S12_S13_S14_NST_IJLi11EEEENST_IJLi12ELi13EEEENST_IJLi14ELi15EEEENST_IJLi16ELi17EEEENST_IJLi18EEEES17_S18_S1A_S19_NST_IJLi23ELi24EEEENST_IJLi25EEEEEEENST_IJLi23ELi25ELi24EEEElEENSB_INS5_IJSR_SP_SP_SR_SG_EEENS5_IJSU_SV_SW_SY_SX_EEENS5_IJNST_IJLi1ELi2EEEESX_SY_NST_IJLi5ELi6EEEES11_EEENST_IJLi5ELi7ELi6EEEElEENSB_INS5_IJSK_SP_SP_EEENS5_IJSU_SV_SW_EEENS5_IJS1P_SX_SY_EEENST_IJLi3ELi4EEEElEELi128ELi128ELi16ELi2ELi4ELi4ELi1ENST_IJLi8ELi2EEEES1Z_NST_IJLi8ELi1ELi1ELi2EEEENST_IJLi2ELi1ELi128ELi1EEEENST_IJLi1ELi2ELi0ELi3EEEES22_NST_IJLi4ELi1ELi1ELi2EEEES22_NST_IJLi1ELi1ELi1ELi2EEEES20_S21_S22_S22_S23_S22_S24_NST_IJLi0ELi1ELi2ELi3ELi4ELi5EEEELi5ELi4EEEDF16_NS5_IJPKDF16_EEEDF16_S8_S8_S9_NSB_INS5_IJSE_SG_SI_SI_SI_SG_SG_SK_SK_SK_SG_SN_SN_SP_SP_SR_SG_SG_NSQ_INS5_IJiNS_17integral_constantIiLi128EEEEEELb0EEENSF_INS2A_IiLi2EEEEEEEENS5_IJSU_SV_SW_SX_SY_SZ_S10_S11_S12_S13_S14_S15_S16_S17_S18_S19_S1A_NST_IJLi23EEEES1J_NST_IJLi24EEEEEEENS5_IJS1C_S10_S11_S12_S13_S14_S1D_S1E_S1F_S1G_S1H_S17_S18_S1A_S19_S1I_S1J_NST_IJLi26EEEENST_IJLi27ELi28EEEENST_IJLi29EEEEEEENST_IJLi26ELi27ELi28ELi29EEEElEENSB_INS5_IJSR_SP_SP_SR_SG_SG_S2D_S2F_EEENS5_IJSU_SV_SW_SY_SX_SZ_S11_S10_EEENS5_IJS1P_SX_SY_S1Q_S11_S12_NST_IJLi9ELi10EEEES1D_EEENST_IJLi8ELi9ELi10ELi11EEEElEENS5_IJNSB_INS5_IJSK_SP_SP_NSQ_INS5_IJiS2E_NS2A_IiLi64EEEEEELb0EEES2Y_EEENS5_IJSU_SV_SW_SX_SY_EEENS5_IJS1P_SX_SY_NST_IJLi5ELi6ELi7EEEENST_IJLi8ELi9ELi10EEEEEEENST_IJLi5ELi6ELi7ELi8ELi9ELi10EEEElEEEEES35_NS_31BlockToCTileMap_M00_N00_M01_N01ILi128ELi128ES1Y_Lb0EEENS1_30ComputePtrOffsetOfStridedBatchILi1ELi1ELi1EvEELb1ELb0EEEvPKT0_S3D_T1_PT2_T3_T4_T5_iT6_T7_T8_T9_T10_T11_.numbered_sgpr, 77
	.set _ZN2ck16tensor_operation6device12_GLOBAL__N_137kernel_grouped_conv_fwd_dl_multiple_dINS_32GridwiseGemmDlMultipleD_km_kn_mnILi256EDF16_fNS_5TupleIJDF16_EEEDF16_NS0_12element_wise11PassThroughES8_NS7_7AddReluELNS_25InMemoryDataOperationEnumE0ENS_16TensorDescriptorINS5_IJNS_5EmbedINS5_IJiiiiiEEESD_Lb0EEENS_11PassThroughIiEENS_3PadIiiiLb0EEESI_SI_SG_SG_NSC_INS5_IJiiEEESJ_Lb0EEESK_SK_SG_NS_23Merge_v2_magic_divisionINS5_IJiiiiEEEEESN_NS_8RightPadIiiLb0EEESP_NS_7UnMergeISJ_Lb0EEESG_EEENS5_IJNS_8SequenceIJLi0EEEENST_IJLi1EEEENST_IJLi2EEEENST_IJLi3EEEENST_IJLi4EEEENST_IJLi5EEEENST_IJLi6EEEENST_IJLi7EEEENST_IJLi8EEEENST_IJLi9EEEENST_IJLi10EEEENST_IJLi11ELi13ELi15ELi17EEEENST_IJLi12ELi14ELi16ELi18EEEENST_IJLi19EEEENST_IJLi20EEEENST_IJLi22EEEENST_IJLi21EEEEEEENS5_IJNST_IJLi1ELi2ELi3ELi4ELi5EEEES10_S11_S12_S13_S14_NST_IJLi11EEEENST_IJLi12ELi13EEEENST_IJLi14ELi15EEEENST_IJLi16ELi17EEEENST_IJLi18EEEES17_S18_S1A_S19_NST_IJLi23ELi24EEEENST_IJLi25EEEEEEENST_IJLi23ELi25ELi24EEEElEENSB_INS5_IJSR_SP_SP_SR_SG_EEENS5_IJSU_SV_SW_SY_SX_EEENS5_IJNST_IJLi1ELi2EEEESX_SY_NST_IJLi5ELi6EEEES11_EEENST_IJLi5ELi7ELi6EEEElEENSB_INS5_IJSK_SP_SP_EEENS5_IJSU_SV_SW_EEENS5_IJS1P_SX_SY_EEENST_IJLi3ELi4EEEElEELi128ELi128ELi16ELi2ELi4ELi4ELi1ENST_IJLi8ELi2EEEES1Z_NST_IJLi8ELi1ELi1ELi2EEEENST_IJLi2ELi1ELi128ELi1EEEENST_IJLi1ELi2ELi0ELi3EEEES22_NST_IJLi4ELi1ELi1ELi2EEEES22_NST_IJLi1ELi1ELi1ELi2EEEES20_S21_S22_S22_S23_S22_S24_NST_IJLi0ELi1ELi2ELi3ELi4ELi5EEEELi5ELi4EEEDF16_NS5_IJPKDF16_EEEDF16_S8_S8_S9_NSB_INS5_IJSE_SG_SI_SI_SI_SG_SG_SK_SK_SK_SG_SN_SN_SP_SP_SR_SG_SG_NSQ_INS5_IJiNS_17integral_constantIiLi128EEEEEELb0EEENSF_INS2A_IiLi2EEEEEEEENS5_IJSU_SV_SW_SX_SY_SZ_S10_S11_S12_S13_S14_S15_S16_S17_S18_S19_S1A_NST_IJLi23EEEES1J_NST_IJLi24EEEEEEENS5_IJS1C_S10_S11_S12_S13_S14_S1D_S1E_S1F_S1G_S1H_S17_S18_S1A_S19_S1I_S1J_NST_IJLi26EEEENST_IJLi27ELi28EEEENST_IJLi29EEEEEEENST_IJLi26ELi27ELi28ELi29EEEElEENSB_INS5_IJSR_SP_SP_SR_SG_SG_S2D_S2F_EEENS5_IJSU_SV_SW_SY_SX_SZ_S11_S10_EEENS5_IJS1P_SX_SY_S1Q_S11_S12_NST_IJLi9ELi10EEEES1D_EEENST_IJLi8ELi9ELi10ELi11EEEElEENS5_IJNSB_INS5_IJSK_SP_SP_NSQ_INS5_IJiS2E_NS2A_IiLi64EEEEEELb0EEES2Y_EEENS5_IJSU_SV_SW_SX_SY_EEENS5_IJS1P_SX_SY_NST_IJLi5ELi6ELi7EEEENST_IJLi8ELi9ELi10EEEEEEENST_IJLi5ELi6ELi7ELi8ELi9ELi10EEEElEEEEES35_NS_31BlockToCTileMap_M00_N00_M01_N01ILi128ELi128ES1Y_Lb0EEENS1_30ComputePtrOffsetOfStridedBatchILi1ELi1ELi1EvEELb1ELb0EEEvPKT0_S3D_T1_PT2_T3_T4_T5_iT6_T7_T8_T9_T10_T11_.num_named_barrier, 0
	.set _ZN2ck16tensor_operation6device12_GLOBAL__N_137kernel_grouped_conv_fwd_dl_multiple_dINS_32GridwiseGemmDlMultipleD_km_kn_mnILi256EDF16_fNS_5TupleIJDF16_EEEDF16_NS0_12element_wise11PassThroughES8_NS7_7AddReluELNS_25InMemoryDataOperationEnumE0ENS_16TensorDescriptorINS5_IJNS_5EmbedINS5_IJiiiiiEEESD_Lb0EEENS_11PassThroughIiEENS_3PadIiiiLb0EEESI_SI_SG_SG_NSC_INS5_IJiiEEESJ_Lb0EEESK_SK_SG_NS_23Merge_v2_magic_divisionINS5_IJiiiiEEEEESN_NS_8RightPadIiiLb0EEESP_NS_7UnMergeISJ_Lb0EEESG_EEENS5_IJNS_8SequenceIJLi0EEEENST_IJLi1EEEENST_IJLi2EEEENST_IJLi3EEEENST_IJLi4EEEENST_IJLi5EEEENST_IJLi6EEEENST_IJLi7EEEENST_IJLi8EEEENST_IJLi9EEEENST_IJLi10EEEENST_IJLi11ELi13ELi15ELi17EEEENST_IJLi12ELi14ELi16ELi18EEEENST_IJLi19EEEENST_IJLi20EEEENST_IJLi22EEEENST_IJLi21EEEEEEENS5_IJNST_IJLi1ELi2ELi3ELi4ELi5EEEES10_S11_S12_S13_S14_NST_IJLi11EEEENST_IJLi12ELi13EEEENST_IJLi14ELi15EEEENST_IJLi16ELi17EEEENST_IJLi18EEEES17_S18_S1A_S19_NST_IJLi23ELi24EEEENST_IJLi25EEEEEEENST_IJLi23ELi25ELi24EEEElEENSB_INS5_IJSR_SP_SP_SR_SG_EEENS5_IJSU_SV_SW_SY_SX_EEENS5_IJNST_IJLi1ELi2EEEESX_SY_NST_IJLi5ELi6EEEES11_EEENST_IJLi5ELi7ELi6EEEElEENSB_INS5_IJSK_SP_SP_EEENS5_IJSU_SV_SW_EEENS5_IJS1P_SX_SY_EEENST_IJLi3ELi4EEEElEELi128ELi128ELi16ELi2ELi4ELi4ELi1ENST_IJLi8ELi2EEEES1Z_NST_IJLi8ELi1ELi1ELi2EEEENST_IJLi2ELi1ELi128ELi1EEEENST_IJLi1ELi2ELi0ELi3EEEES22_NST_IJLi4ELi1ELi1ELi2EEEES22_NST_IJLi1ELi1ELi1ELi2EEEES20_S21_S22_S22_S23_S22_S24_NST_IJLi0ELi1ELi2ELi3ELi4ELi5EEEELi5ELi4EEEDF16_NS5_IJPKDF16_EEEDF16_S8_S8_S9_NSB_INS5_IJSE_SG_SI_SI_SI_SG_SG_SK_SK_SK_SG_SN_SN_SP_SP_SR_SG_SG_NSQ_INS5_IJiNS_17integral_constantIiLi128EEEEEELb0EEENSF_INS2A_IiLi2EEEEEEEENS5_IJSU_SV_SW_SX_SY_SZ_S10_S11_S12_S13_S14_S15_S16_S17_S18_S19_S1A_NST_IJLi23EEEES1J_NST_IJLi24EEEEEEENS5_IJS1C_S10_S11_S12_S13_S14_S1D_S1E_S1F_S1G_S1H_S17_S18_S1A_S19_S1I_S1J_NST_IJLi26EEEENST_IJLi27ELi28EEEENST_IJLi29EEEEEEENST_IJLi26ELi27ELi28ELi29EEEElEENSB_INS5_IJSR_SP_SP_SR_SG_SG_S2D_S2F_EEENS5_IJSU_SV_SW_SY_SX_SZ_S11_S10_EEENS5_IJS1P_SX_SY_S1Q_S11_S12_NST_IJLi9ELi10EEEES1D_EEENST_IJLi8ELi9ELi10ELi11EEEElEENS5_IJNSB_INS5_IJSK_SP_SP_NSQ_INS5_IJiS2E_NS2A_IiLi64EEEEEELb0EEES2Y_EEENS5_IJSU_SV_SW_SX_SY_EEENS5_IJS1P_SX_SY_NST_IJLi5ELi6ELi7EEEENST_IJLi8ELi9ELi10EEEEEEENST_IJLi5ELi6ELi7ELi8ELi9ELi10EEEElEEEEES35_NS_31BlockToCTileMap_M00_N00_M01_N01ILi128ELi128ES1Y_Lb0EEENS1_30ComputePtrOffsetOfStridedBatchILi1ELi1ELi1EvEELb1ELb0EEEvPKT0_S3D_T1_PT2_T3_T4_T5_iT6_T7_T8_T9_T10_T11_.private_seg_size, 0
	.set _ZN2ck16tensor_operation6device12_GLOBAL__N_137kernel_grouped_conv_fwd_dl_multiple_dINS_32GridwiseGemmDlMultipleD_km_kn_mnILi256EDF16_fNS_5TupleIJDF16_EEEDF16_NS0_12element_wise11PassThroughES8_NS7_7AddReluELNS_25InMemoryDataOperationEnumE0ENS_16TensorDescriptorINS5_IJNS_5EmbedINS5_IJiiiiiEEESD_Lb0EEENS_11PassThroughIiEENS_3PadIiiiLb0EEESI_SI_SG_SG_NSC_INS5_IJiiEEESJ_Lb0EEESK_SK_SG_NS_23Merge_v2_magic_divisionINS5_IJiiiiEEEEESN_NS_8RightPadIiiLb0EEESP_NS_7UnMergeISJ_Lb0EEESG_EEENS5_IJNS_8SequenceIJLi0EEEENST_IJLi1EEEENST_IJLi2EEEENST_IJLi3EEEENST_IJLi4EEEENST_IJLi5EEEENST_IJLi6EEEENST_IJLi7EEEENST_IJLi8EEEENST_IJLi9EEEENST_IJLi10EEEENST_IJLi11ELi13ELi15ELi17EEEENST_IJLi12ELi14ELi16ELi18EEEENST_IJLi19EEEENST_IJLi20EEEENST_IJLi22EEEENST_IJLi21EEEEEEENS5_IJNST_IJLi1ELi2ELi3ELi4ELi5EEEES10_S11_S12_S13_S14_NST_IJLi11EEEENST_IJLi12ELi13EEEENST_IJLi14ELi15EEEENST_IJLi16ELi17EEEENST_IJLi18EEEES17_S18_S1A_S19_NST_IJLi23ELi24EEEENST_IJLi25EEEEEEENST_IJLi23ELi25ELi24EEEElEENSB_INS5_IJSR_SP_SP_SR_SG_EEENS5_IJSU_SV_SW_SY_SX_EEENS5_IJNST_IJLi1ELi2EEEESX_SY_NST_IJLi5ELi6EEEES11_EEENST_IJLi5ELi7ELi6EEEElEENSB_INS5_IJSK_SP_SP_EEENS5_IJSU_SV_SW_EEENS5_IJS1P_SX_SY_EEENST_IJLi3ELi4EEEElEELi128ELi128ELi16ELi2ELi4ELi4ELi1ENST_IJLi8ELi2EEEES1Z_NST_IJLi8ELi1ELi1ELi2EEEENST_IJLi2ELi1ELi128ELi1EEEENST_IJLi1ELi2ELi0ELi3EEEES22_NST_IJLi4ELi1ELi1ELi2EEEES22_NST_IJLi1ELi1ELi1ELi2EEEES20_S21_S22_S22_S23_S22_S24_NST_IJLi0ELi1ELi2ELi3ELi4ELi5EEEELi5ELi4EEEDF16_NS5_IJPKDF16_EEEDF16_S8_S8_S9_NSB_INS5_IJSE_SG_SI_SI_SI_SG_SG_SK_SK_SK_SG_SN_SN_SP_SP_SR_SG_SG_NSQ_INS5_IJiNS_17integral_constantIiLi128EEEEEELb0EEENSF_INS2A_IiLi2EEEEEEEENS5_IJSU_SV_SW_SX_SY_SZ_S10_S11_S12_S13_S14_S15_S16_S17_S18_S19_S1A_NST_IJLi23EEEES1J_NST_IJLi24EEEEEEENS5_IJS1C_S10_S11_S12_S13_S14_S1D_S1E_S1F_S1G_S1H_S17_S18_S1A_S19_S1I_S1J_NST_IJLi26EEEENST_IJLi27ELi28EEEENST_IJLi29EEEEEEENST_IJLi26ELi27ELi28ELi29EEEElEENSB_INS5_IJSR_SP_SP_SR_SG_SG_S2D_S2F_EEENS5_IJSU_SV_SW_SY_SX_SZ_S11_S10_EEENS5_IJS1P_SX_SY_S1Q_S11_S12_NST_IJLi9ELi10EEEES1D_EEENST_IJLi8ELi9ELi10ELi11EEEElEENS5_IJNSB_INS5_IJSK_SP_SP_NSQ_INS5_IJiS2E_NS2A_IiLi64EEEEEELb0EEES2Y_EEENS5_IJSU_SV_SW_SX_SY_EEENS5_IJS1P_SX_SY_NST_IJLi5ELi6ELi7EEEENST_IJLi8ELi9ELi10EEEEEEENST_IJLi5ELi6ELi7ELi8ELi9ELi10EEEElEEEEES35_NS_31BlockToCTileMap_M00_N00_M01_N01ILi128ELi128ES1Y_Lb0EEENS1_30ComputePtrOffsetOfStridedBatchILi1ELi1ELi1EvEELb1ELb0EEEvPKT0_S3D_T1_PT2_T3_T4_T5_iT6_T7_T8_T9_T10_T11_.uses_vcc, 1
	.set _ZN2ck16tensor_operation6device12_GLOBAL__N_137kernel_grouped_conv_fwd_dl_multiple_dINS_32GridwiseGemmDlMultipleD_km_kn_mnILi256EDF16_fNS_5TupleIJDF16_EEEDF16_NS0_12element_wise11PassThroughES8_NS7_7AddReluELNS_25InMemoryDataOperationEnumE0ENS_16TensorDescriptorINS5_IJNS_5EmbedINS5_IJiiiiiEEESD_Lb0EEENS_11PassThroughIiEENS_3PadIiiiLb0EEESI_SI_SG_SG_NSC_INS5_IJiiEEESJ_Lb0EEESK_SK_SG_NS_23Merge_v2_magic_divisionINS5_IJiiiiEEEEESN_NS_8RightPadIiiLb0EEESP_NS_7UnMergeISJ_Lb0EEESG_EEENS5_IJNS_8SequenceIJLi0EEEENST_IJLi1EEEENST_IJLi2EEEENST_IJLi3EEEENST_IJLi4EEEENST_IJLi5EEEENST_IJLi6EEEENST_IJLi7EEEENST_IJLi8EEEENST_IJLi9EEEENST_IJLi10EEEENST_IJLi11ELi13ELi15ELi17EEEENST_IJLi12ELi14ELi16ELi18EEEENST_IJLi19EEEENST_IJLi20EEEENST_IJLi22EEEENST_IJLi21EEEEEEENS5_IJNST_IJLi1ELi2ELi3ELi4ELi5EEEES10_S11_S12_S13_S14_NST_IJLi11EEEENST_IJLi12ELi13EEEENST_IJLi14ELi15EEEENST_IJLi16ELi17EEEENST_IJLi18EEEES17_S18_S1A_S19_NST_IJLi23ELi24EEEENST_IJLi25EEEEEEENST_IJLi23ELi25ELi24EEEElEENSB_INS5_IJSR_SP_SP_SR_SG_EEENS5_IJSU_SV_SW_SY_SX_EEENS5_IJNST_IJLi1ELi2EEEESX_SY_NST_IJLi5ELi6EEEES11_EEENST_IJLi5ELi7ELi6EEEElEENSB_INS5_IJSK_SP_SP_EEENS5_IJSU_SV_SW_EEENS5_IJS1P_SX_SY_EEENST_IJLi3ELi4EEEElEELi128ELi128ELi16ELi2ELi4ELi4ELi1ENST_IJLi8ELi2EEEES1Z_NST_IJLi8ELi1ELi1ELi2EEEENST_IJLi2ELi1ELi128ELi1EEEENST_IJLi1ELi2ELi0ELi3EEEES22_NST_IJLi4ELi1ELi1ELi2EEEES22_NST_IJLi1ELi1ELi1ELi2EEEES20_S21_S22_S22_S23_S22_S24_NST_IJLi0ELi1ELi2ELi3ELi4ELi5EEEELi5ELi4EEEDF16_NS5_IJPKDF16_EEEDF16_S8_S8_S9_NSB_INS5_IJSE_SG_SI_SI_SI_SG_SG_SK_SK_SK_SG_SN_SN_SP_SP_SR_SG_SG_NSQ_INS5_IJiNS_17integral_constantIiLi128EEEEEELb0EEENSF_INS2A_IiLi2EEEEEEEENS5_IJSU_SV_SW_SX_SY_SZ_S10_S11_S12_S13_S14_S15_S16_S17_S18_S19_S1A_NST_IJLi23EEEES1J_NST_IJLi24EEEEEEENS5_IJS1C_S10_S11_S12_S13_S14_S1D_S1E_S1F_S1G_S1H_S17_S18_S1A_S19_S1I_S1J_NST_IJLi26EEEENST_IJLi27ELi28EEEENST_IJLi29EEEEEEENST_IJLi26ELi27ELi28ELi29EEEElEENSB_INS5_IJSR_SP_SP_SR_SG_SG_S2D_S2F_EEENS5_IJSU_SV_SW_SY_SX_SZ_S11_S10_EEENS5_IJS1P_SX_SY_S1Q_S11_S12_NST_IJLi9ELi10EEEES1D_EEENST_IJLi8ELi9ELi10ELi11EEEElEENS5_IJNSB_INS5_IJSK_SP_SP_NSQ_INS5_IJiS2E_NS2A_IiLi64EEEEEELb0EEES2Y_EEENS5_IJSU_SV_SW_SX_SY_EEENS5_IJS1P_SX_SY_NST_IJLi5ELi6ELi7EEEENST_IJLi8ELi9ELi10EEEEEEENST_IJLi5ELi6ELi7ELi8ELi9ELi10EEEElEEEEES35_NS_31BlockToCTileMap_M00_N00_M01_N01ILi128ELi128ES1Y_Lb0EEENS1_30ComputePtrOffsetOfStridedBatchILi1ELi1ELi1EvEELb1ELb0EEEvPKT0_S3D_T1_PT2_T3_T4_T5_iT6_T7_T8_T9_T10_T11_.uses_flat_scratch, 0
	.set _ZN2ck16tensor_operation6device12_GLOBAL__N_137kernel_grouped_conv_fwd_dl_multiple_dINS_32GridwiseGemmDlMultipleD_km_kn_mnILi256EDF16_fNS_5TupleIJDF16_EEEDF16_NS0_12element_wise11PassThroughES8_NS7_7AddReluELNS_25InMemoryDataOperationEnumE0ENS_16TensorDescriptorINS5_IJNS_5EmbedINS5_IJiiiiiEEESD_Lb0EEENS_11PassThroughIiEENS_3PadIiiiLb0EEESI_SI_SG_SG_NSC_INS5_IJiiEEESJ_Lb0EEESK_SK_SG_NS_23Merge_v2_magic_divisionINS5_IJiiiiEEEEESN_NS_8RightPadIiiLb0EEESP_NS_7UnMergeISJ_Lb0EEESG_EEENS5_IJNS_8SequenceIJLi0EEEENST_IJLi1EEEENST_IJLi2EEEENST_IJLi3EEEENST_IJLi4EEEENST_IJLi5EEEENST_IJLi6EEEENST_IJLi7EEEENST_IJLi8EEEENST_IJLi9EEEENST_IJLi10EEEENST_IJLi11ELi13ELi15ELi17EEEENST_IJLi12ELi14ELi16ELi18EEEENST_IJLi19EEEENST_IJLi20EEEENST_IJLi22EEEENST_IJLi21EEEEEEENS5_IJNST_IJLi1ELi2ELi3ELi4ELi5EEEES10_S11_S12_S13_S14_NST_IJLi11EEEENST_IJLi12ELi13EEEENST_IJLi14ELi15EEEENST_IJLi16ELi17EEEENST_IJLi18EEEES17_S18_S1A_S19_NST_IJLi23ELi24EEEENST_IJLi25EEEEEEENST_IJLi23ELi25ELi24EEEElEENSB_INS5_IJSR_SP_SP_SR_SG_EEENS5_IJSU_SV_SW_SY_SX_EEENS5_IJNST_IJLi1ELi2EEEESX_SY_NST_IJLi5ELi6EEEES11_EEENST_IJLi5ELi7ELi6EEEElEENSB_INS5_IJSK_SP_SP_EEENS5_IJSU_SV_SW_EEENS5_IJS1P_SX_SY_EEENST_IJLi3ELi4EEEElEELi128ELi128ELi16ELi2ELi4ELi4ELi1ENST_IJLi8ELi2EEEES1Z_NST_IJLi8ELi1ELi1ELi2EEEENST_IJLi2ELi1ELi128ELi1EEEENST_IJLi1ELi2ELi0ELi3EEEES22_NST_IJLi4ELi1ELi1ELi2EEEES22_NST_IJLi1ELi1ELi1ELi2EEEES20_S21_S22_S22_S23_S22_S24_NST_IJLi0ELi1ELi2ELi3ELi4ELi5EEEELi5ELi4EEEDF16_NS5_IJPKDF16_EEEDF16_S8_S8_S9_NSB_INS5_IJSE_SG_SI_SI_SI_SG_SG_SK_SK_SK_SG_SN_SN_SP_SP_SR_SG_SG_NSQ_INS5_IJiNS_17integral_constantIiLi128EEEEEELb0EEENSF_INS2A_IiLi2EEEEEEEENS5_IJSU_SV_SW_SX_SY_SZ_S10_S11_S12_S13_S14_S15_S16_S17_S18_S19_S1A_NST_IJLi23EEEES1J_NST_IJLi24EEEEEEENS5_IJS1C_S10_S11_S12_S13_S14_S1D_S1E_S1F_S1G_S1H_S17_S18_S1A_S19_S1I_S1J_NST_IJLi26EEEENST_IJLi27ELi28EEEENST_IJLi29EEEEEEENST_IJLi26ELi27ELi28ELi29EEEElEENSB_INS5_IJSR_SP_SP_SR_SG_SG_S2D_S2F_EEENS5_IJSU_SV_SW_SY_SX_SZ_S11_S10_EEENS5_IJS1P_SX_SY_S1Q_S11_S12_NST_IJLi9ELi10EEEES1D_EEENST_IJLi8ELi9ELi10ELi11EEEElEENS5_IJNSB_INS5_IJSK_SP_SP_NSQ_INS5_IJiS2E_NS2A_IiLi64EEEEEELb0EEES2Y_EEENS5_IJSU_SV_SW_SX_SY_EEENS5_IJS1P_SX_SY_NST_IJLi5ELi6ELi7EEEENST_IJLi8ELi9ELi10EEEEEEENST_IJLi5ELi6ELi7ELi8ELi9ELi10EEEElEEEEES35_NS_31BlockToCTileMap_M00_N00_M01_N01ILi128ELi128ES1Y_Lb0EEENS1_30ComputePtrOffsetOfStridedBatchILi1ELi1ELi1EvEELb1ELb0EEEvPKT0_S3D_T1_PT2_T3_T4_T5_iT6_T7_T8_T9_T10_T11_.has_dyn_sized_stack, 0
	.set _ZN2ck16tensor_operation6device12_GLOBAL__N_137kernel_grouped_conv_fwd_dl_multiple_dINS_32GridwiseGemmDlMultipleD_km_kn_mnILi256EDF16_fNS_5TupleIJDF16_EEEDF16_NS0_12element_wise11PassThroughES8_NS7_7AddReluELNS_25InMemoryDataOperationEnumE0ENS_16TensorDescriptorINS5_IJNS_5EmbedINS5_IJiiiiiEEESD_Lb0EEENS_11PassThroughIiEENS_3PadIiiiLb0EEESI_SI_SG_SG_NSC_INS5_IJiiEEESJ_Lb0EEESK_SK_SG_NS_23Merge_v2_magic_divisionINS5_IJiiiiEEEEESN_NS_8RightPadIiiLb0EEESP_NS_7UnMergeISJ_Lb0EEESG_EEENS5_IJNS_8SequenceIJLi0EEEENST_IJLi1EEEENST_IJLi2EEEENST_IJLi3EEEENST_IJLi4EEEENST_IJLi5EEEENST_IJLi6EEEENST_IJLi7EEEENST_IJLi8EEEENST_IJLi9EEEENST_IJLi10EEEENST_IJLi11ELi13ELi15ELi17EEEENST_IJLi12ELi14ELi16ELi18EEEENST_IJLi19EEEENST_IJLi20EEEENST_IJLi22EEEENST_IJLi21EEEEEEENS5_IJNST_IJLi1ELi2ELi3ELi4ELi5EEEES10_S11_S12_S13_S14_NST_IJLi11EEEENST_IJLi12ELi13EEEENST_IJLi14ELi15EEEENST_IJLi16ELi17EEEENST_IJLi18EEEES17_S18_S1A_S19_NST_IJLi23ELi24EEEENST_IJLi25EEEEEEENST_IJLi23ELi25ELi24EEEElEENSB_INS5_IJSR_SP_SP_SR_SG_EEENS5_IJSU_SV_SW_SY_SX_EEENS5_IJNST_IJLi1ELi2EEEESX_SY_NST_IJLi5ELi6EEEES11_EEENST_IJLi5ELi7ELi6EEEElEENSB_INS5_IJSK_SP_SP_EEENS5_IJSU_SV_SW_EEENS5_IJS1P_SX_SY_EEENST_IJLi3ELi4EEEElEELi128ELi128ELi16ELi2ELi4ELi4ELi1ENST_IJLi8ELi2EEEES1Z_NST_IJLi8ELi1ELi1ELi2EEEENST_IJLi2ELi1ELi128ELi1EEEENST_IJLi1ELi2ELi0ELi3EEEES22_NST_IJLi4ELi1ELi1ELi2EEEES22_NST_IJLi1ELi1ELi1ELi2EEEES20_S21_S22_S22_S23_S22_S24_NST_IJLi0ELi1ELi2ELi3ELi4ELi5EEEELi5ELi4EEEDF16_NS5_IJPKDF16_EEEDF16_S8_S8_S9_NSB_INS5_IJSE_SG_SI_SI_SI_SG_SG_SK_SK_SK_SG_SN_SN_SP_SP_SR_SG_SG_NSQ_INS5_IJiNS_17integral_constantIiLi128EEEEEELb0EEENSF_INS2A_IiLi2EEEEEEEENS5_IJSU_SV_SW_SX_SY_SZ_S10_S11_S12_S13_S14_S15_S16_S17_S18_S19_S1A_NST_IJLi23EEEES1J_NST_IJLi24EEEEEEENS5_IJS1C_S10_S11_S12_S13_S14_S1D_S1E_S1F_S1G_S1H_S17_S18_S1A_S19_S1I_S1J_NST_IJLi26EEEENST_IJLi27ELi28EEEENST_IJLi29EEEEEEENST_IJLi26ELi27ELi28ELi29EEEElEENSB_INS5_IJSR_SP_SP_SR_SG_SG_S2D_S2F_EEENS5_IJSU_SV_SW_SY_SX_SZ_S11_S10_EEENS5_IJS1P_SX_SY_S1Q_S11_S12_NST_IJLi9ELi10EEEES1D_EEENST_IJLi8ELi9ELi10ELi11EEEElEENS5_IJNSB_INS5_IJSK_SP_SP_NSQ_INS5_IJiS2E_NS2A_IiLi64EEEEEELb0EEES2Y_EEENS5_IJSU_SV_SW_SX_SY_EEENS5_IJS1P_SX_SY_NST_IJLi5ELi6ELi7EEEENST_IJLi8ELi9ELi10EEEEEEENST_IJLi5ELi6ELi7ELi8ELi9ELi10EEEElEEEEES35_NS_31BlockToCTileMap_M00_N00_M01_N01ILi128ELi128ES1Y_Lb0EEENS1_30ComputePtrOffsetOfStridedBatchILi1ELi1ELi1EvEELb1ELb0EEEvPKT0_S3D_T1_PT2_T3_T4_T5_iT6_T7_T8_T9_T10_T11_.has_recursion, 0
	.set _ZN2ck16tensor_operation6device12_GLOBAL__N_137kernel_grouped_conv_fwd_dl_multiple_dINS_32GridwiseGemmDlMultipleD_km_kn_mnILi256EDF16_fNS_5TupleIJDF16_EEEDF16_NS0_12element_wise11PassThroughES8_NS7_7AddReluELNS_25InMemoryDataOperationEnumE0ENS_16TensorDescriptorINS5_IJNS_5EmbedINS5_IJiiiiiEEESD_Lb0EEENS_11PassThroughIiEENS_3PadIiiiLb0EEESI_SI_SG_SG_NSC_INS5_IJiiEEESJ_Lb0EEESK_SK_SG_NS_23Merge_v2_magic_divisionINS5_IJiiiiEEEEESN_NS_8RightPadIiiLb0EEESP_NS_7UnMergeISJ_Lb0EEESG_EEENS5_IJNS_8SequenceIJLi0EEEENST_IJLi1EEEENST_IJLi2EEEENST_IJLi3EEEENST_IJLi4EEEENST_IJLi5EEEENST_IJLi6EEEENST_IJLi7EEEENST_IJLi8EEEENST_IJLi9EEEENST_IJLi10EEEENST_IJLi11ELi13ELi15ELi17EEEENST_IJLi12ELi14ELi16ELi18EEEENST_IJLi19EEEENST_IJLi20EEEENST_IJLi22EEEENST_IJLi21EEEEEEENS5_IJNST_IJLi1ELi2ELi3ELi4ELi5EEEES10_S11_S12_S13_S14_NST_IJLi11EEEENST_IJLi12ELi13EEEENST_IJLi14ELi15EEEENST_IJLi16ELi17EEEENST_IJLi18EEEES17_S18_S1A_S19_NST_IJLi23ELi24EEEENST_IJLi25EEEEEEENST_IJLi23ELi25ELi24EEEElEENSB_INS5_IJSR_SP_SP_SR_SG_EEENS5_IJSU_SV_SW_SY_SX_EEENS5_IJNST_IJLi1ELi2EEEESX_SY_NST_IJLi5ELi6EEEES11_EEENST_IJLi5ELi7ELi6EEEElEENSB_INS5_IJSK_SP_SP_EEENS5_IJSU_SV_SW_EEENS5_IJS1P_SX_SY_EEENST_IJLi3ELi4EEEElEELi128ELi128ELi16ELi2ELi4ELi4ELi1ENST_IJLi8ELi2EEEES1Z_NST_IJLi8ELi1ELi1ELi2EEEENST_IJLi2ELi1ELi128ELi1EEEENST_IJLi1ELi2ELi0ELi3EEEES22_NST_IJLi4ELi1ELi1ELi2EEEES22_NST_IJLi1ELi1ELi1ELi2EEEES20_S21_S22_S22_S23_S22_S24_NST_IJLi0ELi1ELi2ELi3ELi4ELi5EEEELi5ELi4EEEDF16_NS5_IJPKDF16_EEEDF16_S8_S8_S9_NSB_INS5_IJSE_SG_SI_SI_SI_SG_SG_SK_SK_SK_SG_SN_SN_SP_SP_SR_SG_SG_NSQ_INS5_IJiNS_17integral_constantIiLi128EEEEEELb0EEENSF_INS2A_IiLi2EEEEEEEENS5_IJSU_SV_SW_SX_SY_SZ_S10_S11_S12_S13_S14_S15_S16_S17_S18_S19_S1A_NST_IJLi23EEEES1J_NST_IJLi24EEEEEEENS5_IJS1C_S10_S11_S12_S13_S14_S1D_S1E_S1F_S1G_S1H_S17_S18_S1A_S19_S1I_S1J_NST_IJLi26EEEENST_IJLi27ELi28EEEENST_IJLi29EEEEEEENST_IJLi26ELi27ELi28ELi29EEEElEENSB_INS5_IJSR_SP_SP_SR_SG_SG_S2D_S2F_EEENS5_IJSU_SV_SW_SY_SX_SZ_S11_S10_EEENS5_IJS1P_SX_SY_S1Q_S11_S12_NST_IJLi9ELi10EEEES1D_EEENST_IJLi8ELi9ELi10ELi11EEEElEENS5_IJNSB_INS5_IJSK_SP_SP_NSQ_INS5_IJiS2E_NS2A_IiLi64EEEEEELb0EEES2Y_EEENS5_IJSU_SV_SW_SX_SY_EEENS5_IJS1P_SX_SY_NST_IJLi5ELi6ELi7EEEENST_IJLi8ELi9ELi10EEEEEEENST_IJLi5ELi6ELi7ELi8ELi9ELi10EEEElEEEEES35_NS_31BlockToCTileMap_M00_N00_M01_N01ILi128ELi128ES1Y_Lb0EEENS1_30ComputePtrOffsetOfStridedBatchILi1ELi1ELi1EvEELb1ELb0EEEvPKT0_S3D_T1_PT2_T3_T4_T5_iT6_T7_T8_T9_T10_T11_.has_indirect_call, 0
	.section	.AMDGPU.csdata,"",@progbits
; Kernel info:
; codeLenInByte = 21164
; TotalNumSgprs: 83
; NumVgprs: 136
; NumAgprs: 0
; TotalNumVgprs: 136
; ScratchSize: 0
; MemoryBound: 0
; FloatMode: 240
; IeeeMode: 1
; LDSByteSize: 32768 bytes/workgroup (compile time only)
; SGPRBlocks: 12
; VGPRBlocks: 16
; NumSGPRsForWavesPerEU: 102
; NumVGPRsForWavesPerEU: 136
; AccumOffset: 136
; Occupancy: 3
; WaveLimiterHint : 1
; COMPUTE_PGM_RSRC2:SCRATCH_EN: 0
; COMPUTE_PGM_RSRC2:USER_SGPR: 2
; COMPUTE_PGM_RSRC2:TRAP_HANDLER: 0
; COMPUTE_PGM_RSRC2:TGID_X_EN: 1
; COMPUTE_PGM_RSRC2:TGID_Y_EN: 0
; COMPUTE_PGM_RSRC2:TGID_Z_EN: 0
; COMPUTE_PGM_RSRC2:TIDIG_COMP_CNT: 0
; COMPUTE_PGM_RSRC3_GFX90A:ACCUM_OFFSET: 33
; COMPUTE_PGM_RSRC3_GFX90A:TG_SPLIT: 0
	.section	.text._ZN2ck16tensor_operation6device12_GLOBAL__N_137kernel_grouped_conv_fwd_dl_multiple_dINS_32GridwiseGemmDlMultipleD_km_kn_mnILi256EDF16_fNS_5TupleIJDF16_EEEDF16_NS0_12element_wise11PassThroughES8_NS7_7AddReluELNS_25InMemoryDataOperationEnumE0ENS_16TensorDescriptorINS5_IJNS_5EmbedINS5_IJiiiiiEEESD_Lb0EEENS_11PassThroughIiEENS_3PadIiiiLb0EEESI_SI_SG_SG_NSC_INS5_IJiiEEESJ_Lb0EEESK_SK_SG_NS_23Merge_v2_magic_divisionINS5_IJiiiiEEEEESN_NS_8RightPadIiiLb0EEESP_NS_7UnMergeISJ_Lb0EEESG_EEENS5_IJNS_8SequenceIJLi0EEEENST_IJLi1EEEENST_IJLi2EEEENST_IJLi3EEEENST_IJLi4EEEENST_IJLi5EEEENST_IJLi6EEEENST_IJLi7EEEENST_IJLi8EEEENST_IJLi9EEEENST_IJLi10EEEENST_IJLi11ELi13ELi15ELi17EEEENST_IJLi12ELi14ELi16ELi18EEEENST_IJLi19EEEENST_IJLi20EEEENST_IJLi22EEEENST_IJLi21EEEEEEENS5_IJNST_IJLi1ELi2ELi3ELi4ELi5EEEES10_S11_S12_S13_S14_NST_IJLi11EEEENST_IJLi12ELi13EEEENST_IJLi14ELi15EEEENST_IJLi16ELi17EEEENST_IJLi18EEEES17_S18_S1A_S19_NST_IJLi23ELi24EEEENST_IJLi25EEEEEEENST_IJLi23ELi25ELi24EEEElEENSB_INS5_IJSR_SP_SP_SR_SG_EEENS5_IJSU_SV_SW_SY_SX_EEENS5_IJNST_IJLi1ELi2EEEESX_SY_NST_IJLi5ELi6EEEES11_EEENST_IJLi5ELi7ELi6EEEElEENSB_INS5_IJSK_SP_SP_EEENS5_IJSU_SV_SW_EEENS5_IJS1P_SX_SY_EEENST_IJLi3ELi4EEEElEELi128ELi128ELi16ELi2ELi4ELi4ELi1ENST_IJLi8ELi2EEEES1Z_NST_IJLi8ELi1ELi1ELi2EEEENST_IJLi2ELi1ELi128ELi1EEEENST_IJLi1ELi2ELi0ELi3EEEES22_NST_IJLi4ELi1ELi1ELi2EEEES22_NST_IJLi1ELi1ELi1ELi2EEEES20_S21_S22_S22_S23_S22_S24_NST_IJLi0ELi1ELi2ELi3ELi4ELi5EEEELi5ELi4EEEDF16_NS5_IJPKDF16_EEEDF16_S8_S8_S9_NSB_INS5_IJSE_SG_SI_SI_SI_SG_SG_SK_SK_SK_SG_SN_SN_SP_SP_SR_SG_SG_NSQ_INS5_IJiNS_17integral_constantIiLi128EEEEEELb0EEENSF_INS2A_IiLi2EEEEEEEENS5_IJSU_SV_SW_SX_SY_SZ_S10_S11_S12_S13_S14_S15_S16_S17_S18_S19_S1A_NST_IJLi23EEEES1J_NST_IJLi24EEEEEEENS5_IJS1C_S10_S11_S12_S13_S14_S1D_S1E_S1F_S1G_S1H_S17_S18_S1A_S19_S1I_S1J_NST_IJLi26EEEENST_IJLi27ELi28EEEENST_IJLi29EEEEEEENST_IJLi26ELi27ELi28ELi29EEEElEENSB_INS5_IJSR_SP_SP_SR_SG_SG_S2D_S2F_EEENS5_IJSU_SV_SW_SY_SX_SZ_S11_S10_EEENS5_IJS1P_SX_SY_S1Q_S11_S12_NST_IJLi9ELi10EEEES1D_EEENST_IJLi8ELi9ELi10ELi11EEEElEENS5_IJNSB_INS5_IJSK_SP_SP_NSQ_INS5_IJiS2E_NS2A_IiLi64EEEEEELb0EEES2Y_EEENS5_IJSU_SV_SW_SX_SY_EEENS5_IJS1P_SX_SY_NST_IJLi5ELi6ELi7EEEENST_IJLi8ELi9ELi10EEEEEEENST_IJLi5ELi6ELi7ELi8ELi9ELi10EEEElEEEEES35_NS_31BlockToCTileMap_M00_N00_M01_N01ILi128ELi128ES1Y_Lb0EEENS1_30ComputePtrOffsetOfStridedBatchILi1ELi1ELi1EvEELb0ELb1EEEvPKT0_S3D_T1_PT2_T3_T4_T5_iT6_T7_T8_T9_T10_T11_,"axG",@progbits,_ZN2ck16tensor_operation6device12_GLOBAL__N_137kernel_grouped_conv_fwd_dl_multiple_dINS_32GridwiseGemmDlMultipleD_km_kn_mnILi256EDF16_fNS_5TupleIJDF16_EEEDF16_NS0_12element_wise11PassThroughES8_NS7_7AddReluELNS_25InMemoryDataOperationEnumE0ENS_16TensorDescriptorINS5_IJNS_5EmbedINS5_IJiiiiiEEESD_Lb0EEENS_11PassThroughIiEENS_3PadIiiiLb0EEESI_SI_SG_SG_NSC_INS5_IJiiEEESJ_Lb0EEESK_SK_SG_NS_23Merge_v2_magic_divisionINS5_IJiiiiEEEEESN_NS_8RightPadIiiLb0EEESP_NS_7UnMergeISJ_Lb0EEESG_EEENS5_IJNS_8SequenceIJLi0EEEENST_IJLi1EEEENST_IJLi2EEEENST_IJLi3EEEENST_IJLi4EEEENST_IJLi5EEEENST_IJLi6EEEENST_IJLi7EEEENST_IJLi8EEEENST_IJLi9EEEENST_IJLi10EEEENST_IJLi11ELi13ELi15ELi17EEEENST_IJLi12ELi14ELi16ELi18EEEENST_IJLi19EEEENST_IJLi20EEEENST_IJLi22EEEENST_IJLi21EEEEEEENS5_IJNST_IJLi1ELi2ELi3ELi4ELi5EEEES10_S11_S12_S13_S14_NST_IJLi11EEEENST_IJLi12ELi13EEEENST_IJLi14ELi15EEEENST_IJLi16ELi17EEEENST_IJLi18EEEES17_S18_S1A_S19_NST_IJLi23ELi24EEEENST_IJLi25EEEEEEENST_IJLi23ELi25ELi24EEEElEENSB_INS5_IJSR_SP_SP_SR_SG_EEENS5_IJSU_SV_SW_SY_SX_EEENS5_IJNST_IJLi1ELi2EEEESX_SY_NST_IJLi5ELi6EEEES11_EEENST_IJLi5ELi7ELi6EEEElEENSB_INS5_IJSK_SP_SP_EEENS5_IJSU_SV_SW_EEENS5_IJS1P_SX_SY_EEENST_IJLi3ELi4EEEElEELi128ELi128ELi16ELi2ELi4ELi4ELi1ENST_IJLi8ELi2EEEES1Z_NST_IJLi8ELi1ELi1ELi2EEEENST_IJLi2ELi1ELi128ELi1EEEENST_IJLi1ELi2ELi0ELi3EEEES22_NST_IJLi4ELi1ELi1ELi2EEEES22_NST_IJLi1ELi1ELi1ELi2EEEES20_S21_S22_S22_S23_S22_S24_NST_IJLi0ELi1ELi2ELi3ELi4ELi5EEEELi5ELi4EEEDF16_NS5_IJPKDF16_EEEDF16_S8_S8_S9_NSB_INS5_IJSE_SG_SI_SI_SI_SG_SG_SK_SK_SK_SG_SN_SN_SP_SP_SR_SG_SG_NSQ_INS5_IJiNS_17integral_constantIiLi128EEEEEELb0EEENSF_INS2A_IiLi2EEEEEEEENS5_IJSU_SV_SW_SX_SY_SZ_S10_S11_S12_S13_S14_S15_S16_S17_S18_S19_S1A_NST_IJLi23EEEES1J_NST_IJLi24EEEEEEENS5_IJS1C_S10_S11_S12_S13_S14_S1D_S1E_S1F_S1G_S1H_S17_S18_S1A_S19_S1I_S1J_NST_IJLi26EEEENST_IJLi27ELi28EEEENST_IJLi29EEEEEEENST_IJLi26ELi27ELi28ELi29EEEElEENSB_INS5_IJSR_SP_SP_SR_SG_SG_S2D_S2F_EEENS5_IJSU_SV_SW_SY_SX_SZ_S11_S10_EEENS5_IJS1P_SX_SY_S1Q_S11_S12_NST_IJLi9ELi10EEEES1D_EEENST_IJLi8ELi9ELi10ELi11EEEElEENS5_IJNSB_INS5_IJSK_SP_SP_NSQ_INS5_IJiS2E_NS2A_IiLi64EEEEEELb0EEES2Y_EEENS5_IJSU_SV_SW_SX_SY_EEENS5_IJS1P_SX_SY_NST_IJLi5ELi6ELi7EEEENST_IJLi8ELi9ELi10EEEEEEENST_IJLi5ELi6ELi7ELi8ELi9ELi10EEEElEEEEES35_NS_31BlockToCTileMap_M00_N00_M01_N01ILi128ELi128ES1Y_Lb0EEENS1_30ComputePtrOffsetOfStridedBatchILi1ELi1ELi1EvEELb0ELb1EEEvPKT0_S3D_T1_PT2_T3_T4_T5_iT6_T7_T8_T9_T10_T11_,comdat
	.globl	_ZN2ck16tensor_operation6device12_GLOBAL__N_137kernel_grouped_conv_fwd_dl_multiple_dINS_32GridwiseGemmDlMultipleD_km_kn_mnILi256EDF16_fNS_5TupleIJDF16_EEEDF16_NS0_12element_wise11PassThroughES8_NS7_7AddReluELNS_25InMemoryDataOperationEnumE0ENS_16TensorDescriptorINS5_IJNS_5EmbedINS5_IJiiiiiEEESD_Lb0EEENS_11PassThroughIiEENS_3PadIiiiLb0EEESI_SI_SG_SG_NSC_INS5_IJiiEEESJ_Lb0EEESK_SK_SG_NS_23Merge_v2_magic_divisionINS5_IJiiiiEEEEESN_NS_8RightPadIiiLb0EEESP_NS_7UnMergeISJ_Lb0EEESG_EEENS5_IJNS_8SequenceIJLi0EEEENST_IJLi1EEEENST_IJLi2EEEENST_IJLi3EEEENST_IJLi4EEEENST_IJLi5EEEENST_IJLi6EEEENST_IJLi7EEEENST_IJLi8EEEENST_IJLi9EEEENST_IJLi10EEEENST_IJLi11ELi13ELi15ELi17EEEENST_IJLi12ELi14ELi16ELi18EEEENST_IJLi19EEEENST_IJLi20EEEENST_IJLi22EEEENST_IJLi21EEEEEEENS5_IJNST_IJLi1ELi2ELi3ELi4ELi5EEEES10_S11_S12_S13_S14_NST_IJLi11EEEENST_IJLi12ELi13EEEENST_IJLi14ELi15EEEENST_IJLi16ELi17EEEENST_IJLi18EEEES17_S18_S1A_S19_NST_IJLi23ELi24EEEENST_IJLi25EEEEEEENST_IJLi23ELi25ELi24EEEElEENSB_INS5_IJSR_SP_SP_SR_SG_EEENS5_IJSU_SV_SW_SY_SX_EEENS5_IJNST_IJLi1ELi2EEEESX_SY_NST_IJLi5ELi6EEEES11_EEENST_IJLi5ELi7ELi6EEEElEENSB_INS5_IJSK_SP_SP_EEENS5_IJSU_SV_SW_EEENS5_IJS1P_SX_SY_EEENST_IJLi3ELi4EEEElEELi128ELi128ELi16ELi2ELi4ELi4ELi1ENST_IJLi8ELi2EEEES1Z_NST_IJLi8ELi1ELi1ELi2EEEENST_IJLi2ELi1ELi128ELi1EEEENST_IJLi1ELi2ELi0ELi3EEEES22_NST_IJLi4ELi1ELi1ELi2EEEES22_NST_IJLi1ELi1ELi1ELi2EEEES20_S21_S22_S22_S23_S22_S24_NST_IJLi0ELi1ELi2ELi3ELi4ELi5EEEELi5ELi4EEEDF16_NS5_IJPKDF16_EEEDF16_S8_S8_S9_NSB_INS5_IJSE_SG_SI_SI_SI_SG_SG_SK_SK_SK_SG_SN_SN_SP_SP_SR_SG_SG_NSQ_INS5_IJiNS_17integral_constantIiLi128EEEEEELb0EEENSF_INS2A_IiLi2EEEEEEEENS5_IJSU_SV_SW_SX_SY_SZ_S10_S11_S12_S13_S14_S15_S16_S17_S18_S19_S1A_NST_IJLi23EEEES1J_NST_IJLi24EEEEEEENS5_IJS1C_S10_S11_S12_S13_S14_S1D_S1E_S1F_S1G_S1H_S17_S18_S1A_S19_S1I_S1J_NST_IJLi26EEEENST_IJLi27ELi28EEEENST_IJLi29EEEEEEENST_IJLi26ELi27ELi28ELi29EEEElEENSB_INS5_IJSR_SP_SP_SR_SG_SG_S2D_S2F_EEENS5_IJSU_SV_SW_SY_SX_SZ_S11_S10_EEENS5_IJS1P_SX_SY_S1Q_S11_S12_NST_IJLi9ELi10EEEES1D_EEENST_IJLi8ELi9ELi10ELi11EEEElEENS5_IJNSB_INS5_IJSK_SP_SP_NSQ_INS5_IJiS2E_NS2A_IiLi64EEEEEELb0EEES2Y_EEENS5_IJSU_SV_SW_SX_SY_EEENS5_IJS1P_SX_SY_NST_IJLi5ELi6ELi7EEEENST_IJLi8ELi9ELi10EEEEEEENST_IJLi5ELi6ELi7ELi8ELi9ELi10EEEElEEEEES35_NS_31BlockToCTileMap_M00_N00_M01_N01ILi128ELi128ES1Y_Lb0EEENS1_30ComputePtrOffsetOfStridedBatchILi1ELi1ELi1EvEELb0ELb1EEEvPKT0_S3D_T1_PT2_T3_T4_T5_iT6_T7_T8_T9_T10_T11_ ; -- Begin function _ZN2ck16tensor_operation6device12_GLOBAL__N_137kernel_grouped_conv_fwd_dl_multiple_dINS_32GridwiseGemmDlMultipleD_km_kn_mnILi256EDF16_fNS_5TupleIJDF16_EEEDF16_NS0_12element_wise11PassThroughES8_NS7_7AddReluELNS_25InMemoryDataOperationEnumE0ENS_16TensorDescriptorINS5_IJNS_5EmbedINS5_IJiiiiiEEESD_Lb0EEENS_11PassThroughIiEENS_3PadIiiiLb0EEESI_SI_SG_SG_NSC_INS5_IJiiEEESJ_Lb0EEESK_SK_SG_NS_23Merge_v2_magic_divisionINS5_IJiiiiEEEEESN_NS_8RightPadIiiLb0EEESP_NS_7UnMergeISJ_Lb0EEESG_EEENS5_IJNS_8SequenceIJLi0EEEENST_IJLi1EEEENST_IJLi2EEEENST_IJLi3EEEENST_IJLi4EEEENST_IJLi5EEEENST_IJLi6EEEENST_IJLi7EEEENST_IJLi8EEEENST_IJLi9EEEENST_IJLi10EEEENST_IJLi11ELi13ELi15ELi17EEEENST_IJLi12ELi14ELi16ELi18EEEENST_IJLi19EEEENST_IJLi20EEEENST_IJLi22EEEENST_IJLi21EEEEEEENS5_IJNST_IJLi1ELi2ELi3ELi4ELi5EEEES10_S11_S12_S13_S14_NST_IJLi11EEEENST_IJLi12ELi13EEEENST_IJLi14ELi15EEEENST_IJLi16ELi17EEEENST_IJLi18EEEES17_S18_S1A_S19_NST_IJLi23ELi24EEEENST_IJLi25EEEEEEENST_IJLi23ELi25ELi24EEEElEENSB_INS5_IJSR_SP_SP_SR_SG_EEENS5_IJSU_SV_SW_SY_SX_EEENS5_IJNST_IJLi1ELi2EEEESX_SY_NST_IJLi5ELi6EEEES11_EEENST_IJLi5ELi7ELi6EEEElEENSB_INS5_IJSK_SP_SP_EEENS5_IJSU_SV_SW_EEENS5_IJS1P_SX_SY_EEENST_IJLi3ELi4EEEElEELi128ELi128ELi16ELi2ELi4ELi4ELi1ENST_IJLi8ELi2EEEES1Z_NST_IJLi8ELi1ELi1ELi2EEEENST_IJLi2ELi1ELi128ELi1EEEENST_IJLi1ELi2ELi0ELi3EEEES22_NST_IJLi4ELi1ELi1ELi2EEEES22_NST_IJLi1ELi1ELi1ELi2EEEES20_S21_S22_S22_S23_S22_S24_NST_IJLi0ELi1ELi2ELi3ELi4ELi5EEEELi5ELi4EEEDF16_NS5_IJPKDF16_EEEDF16_S8_S8_S9_NSB_INS5_IJSE_SG_SI_SI_SI_SG_SG_SK_SK_SK_SG_SN_SN_SP_SP_SR_SG_SG_NSQ_INS5_IJiNS_17integral_constantIiLi128EEEEEELb0EEENSF_INS2A_IiLi2EEEEEEEENS5_IJSU_SV_SW_SX_SY_SZ_S10_S11_S12_S13_S14_S15_S16_S17_S18_S19_S1A_NST_IJLi23EEEES1J_NST_IJLi24EEEEEEENS5_IJS1C_S10_S11_S12_S13_S14_S1D_S1E_S1F_S1G_S1H_S17_S18_S1A_S19_S1I_S1J_NST_IJLi26EEEENST_IJLi27ELi28EEEENST_IJLi29EEEEEEENST_IJLi26ELi27ELi28ELi29EEEElEENSB_INS5_IJSR_SP_SP_SR_SG_SG_S2D_S2F_EEENS5_IJSU_SV_SW_SY_SX_SZ_S11_S10_EEENS5_IJS1P_SX_SY_S1Q_S11_S12_NST_IJLi9ELi10EEEES1D_EEENST_IJLi8ELi9ELi10ELi11EEEElEENS5_IJNSB_INS5_IJSK_SP_SP_NSQ_INS5_IJiS2E_NS2A_IiLi64EEEEEELb0EEES2Y_EEENS5_IJSU_SV_SW_SX_SY_EEENS5_IJS1P_SX_SY_NST_IJLi5ELi6ELi7EEEENST_IJLi8ELi9ELi10EEEEEEENST_IJLi5ELi6ELi7ELi8ELi9ELi10EEEElEEEEES35_NS_31BlockToCTileMap_M00_N00_M01_N01ILi128ELi128ES1Y_Lb0EEENS1_30ComputePtrOffsetOfStridedBatchILi1ELi1ELi1EvEELb0ELb1EEEvPKT0_S3D_T1_PT2_T3_T4_T5_iT6_T7_T8_T9_T10_T11_
	.p2align	8
	.type	_ZN2ck16tensor_operation6device12_GLOBAL__N_137kernel_grouped_conv_fwd_dl_multiple_dINS_32GridwiseGemmDlMultipleD_km_kn_mnILi256EDF16_fNS_5TupleIJDF16_EEEDF16_NS0_12element_wise11PassThroughES8_NS7_7AddReluELNS_25InMemoryDataOperationEnumE0ENS_16TensorDescriptorINS5_IJNS_5EmbedINS5_IJiiiiiEEESD_Lb0EEENS_11PassThroughIiEENS_3PadIiiiLb0EEESI_SI_SG_SG_NSC_INS5_IJiiEEESJ_Lb0EEESK_SK_SG_NS_23Merge_v2_magic_divisionINS5_IJiiiiEEEEESN_NS_8RightPadIiiLb0EEESP_NS_7UnMergeISJ_Lb0EEESG_EEENS5_IJNS_8SequenceIJLi0EEEENST_IJLi1EEEENST_IJLi2EEEENST_IJLi3EEEENST_IJLi4EEEENST_IJLi5EEEENST_IJLi6EEEENST_IJLi7EEEENST_IJLi8EEEENST_IJLi9EEEENST_IJLi10EEEENST_IJLi11ELi13ELi15ELi17EEEENST_IJLi12ELi14ELi16ELi18EEEENST_IJLi19EEEENST_IJLi20EEEENST_IJLi22EEEENST_IJLi21EEEEEEENS5_IJNST_IJLi1ELi2ELi3ELi4ELi5EEEES10_S11_S12_S13_S14_NST_IJLi11EEEENST_IJLi12ELi13EEEENST_IJLi14ELi15EEEENST_IJLi16ELi17EEEENST_IJLi18EEEES17_S18_S1A_S19_NST_IJLi23ELi24EEEENST_IJLi25EEEEEEENST_IJLi23ELi25ELi24EEEElEENSB_INS5_IJSR_SP_SP_SR_SG_EEENS5_IJSU_SV_SW_SY_SX_EEENS5_IJNST_IJLi1ELi2EEEESX_SY_NST_IJLi5ELi6EEEES11_EEENST_IJLi5ELi7ELi6EEEElEENSB_INS5_IJSK_SP_SP_EEENS5_IJSU_SV_SW_EEENS5_IJS1P_SX_SY_EEENST_IJLi3ELi4EEEElEELi128ELi128ELi16ELi2ELi4ELi4ELi1ENST_IJLi8ELi2EEEES1Z_NST_IJLi8ELi1ELi1ELi2EEEENST_IJLi2ELi1ELi128ELi1EEEENST_IJLi1ELi2ELi0ELi3EEEES22_NST_IJLi4ELi1ELi1ELi2EEEES22_NST_IJLi1ELi1ELi1ELi2EEEES20_S21_S22_S22_S23_S22_S24_NST_IJLi0ELi1ELi2ELi3ELi4ELi5EEEELi5ELi4EEEDF16_NS5_IJPKDF16_EEEDF16_S8_S8_S9_NSB_INS5_IJSE_SG_SI_SI_SI_SG_SG_SK_SK_SK_SG_SN_SN_SP_SP_SR_SG_SG_NSQ_INS5_IJiNS_17integral_constantIiLi128EEEEEELb0EEENSF_INS2A_IiLi2EEEEEEEENS5_IJSU_SV_SW_SX_SY_SZ_S10_S11_S12_S13_S14_S15_S16_S17_S18_S19_S1A_NST_IJLi23EEEES1J_NST_IJLi24EEEEEEENS5_IJS1C_S10_S11_S12_S13_S14_S1D_S1E_S1F_S1G_S1H_S17_S18_S1A_S19_S1I_S1J_NST_IJLi26EEEENST_IJLi27ELi28EEEENST_IJLi29EEEEEEENST_IJLi26ELi27ELi28ELi29EEEElEENSB_INS5_IJSR_SP_SP_SR_SG_SG_S2D_S2F_EEENS5_IJSU_SV_SW_SY_SX_SZ_S11_S10_EEENS5_IJS1P_SX_SY_S1Q_S11_S12_NST_IJLi9ELi10EEEES1D_EEENST_IJLi8ELi9ELi10ELi11EEEElEENS5_IJNSB_INS5_IJSK_SP_SP_NSQ_INS5_IJiS2E_NS2A_IiLi64EEEEEELb0EEES2Y_EEENS5_IJSU_SV_SW_SX_SY_EEENS5_IJS1P_SX_SY_NST_IJLi5ELi6ELi7EEEENST_IJLi8ELi9ELi10EEEEEEENST_IJLi5ELi6ELi7ELi8ELi9ELi10EEEElEEEEES35_NS_31BlockToCTileMap_M00_N00_M01_N01ILi128ELi128ES1Y_Lb0EEENS1_30ComputePtrOffsetOfStridedBatchILi1ELi1ELi1EvEELb0ELb1EEEvPKT0_S3D_T1_PT2_T3_T4_T5_iT6_T7_T8_T9_T10_T11_,@function
_ZN2ck16tensor_operation6device12_GLOBAL__N_137kernel_grouped_conv_fwd_dl_multiple_dINS_32GridwiseGemmDlMultipleD_km_kn_mnILi256EDF16_fNS_5TupleIJDF16_EEEDF16_NS0_12element_wise11PassThroughES8_NS7_7AddReluELNS_25InMemoryDataOperationEnumE0ENS_16TensorDescriptorINS5_IJNS_5EmbedINS5_IJiiiiiEEESD_Lb0EEENS_11PassThroughIiEENS_3PadIiiiLb0EEESI_SI_SG_SG_NSC_INS5_IJiiEEESJ_Lb0EEESK_SK_SG_NS_23Merge_v2_magic_divisionINS5_IJiiiiEEEEESN_NS_8RightPadIiiLb0EEESP_NS_7UnMergeISJ_Lb0EEESG_EEENS5_IJNS_8SequenceIJLi0EEEENST_IJLi1EEEENST_IJLi2EEEENST_IJLi3EEEENST_IJLi4EEEENST_IJLi5EEEENST_IJLi6EEEENST_IJLi7EEEENST_IJLi8EEEENST_IJLi9EEEENST_IJLi10EEEENST_IJLi11ELi13ELi15ELi17EEEENST_IJLi12ELi14ELi16ELi18EEEENST_IJLi19EEEENST_IJLi20EEEENST_IJLi22EEEENST_IJLi21EEEEEEENS5_IJNST_IJLi1ELi2ELi3ELi4ELi5EEEES10_S11_S12_S13_S14_NST_IJLi11EEEENST_IJLi12ELi13EEEENST_IJLi14ELi15EEEENST_IJLi16ELi17EEEENST_IJLi18EEEES17_S18_S1A_S19_NST_IJLi23ELi24EEEENST_IJLi25EEEEEEENST_IJLi23ELi25ELi24EEEElEENSB_INS5_IJSR_SP_SP_SR_SG_EEENS5_IJSU_SV_SW_SY_SX_EEENS5_IJNST_IJLi1ELi2EEEESX_SY_NST_IJLi5ELi6EEEES11_EEENST_IJLi5ELi7ELi6EEEElEENSB_INS5_IJSK_SP_SP_EEENS5_IJSU_SV_SW_EEENS5_IJS1P_SX_SY_EEENST_IJLi3ELi4EEEElEELi128ELi128ELi16ELi2ELi4ELi4ELi1ENST_IJLi8ELi2EEEES1Z_NST_IJLi8ELi1ELi1ELi2EEEENST_IJLi2ELi1ELi128ELi1EEEENST_IJLi1ELi2ELi0ELi3EEEES22_NST_IJLi4ELi1ELi1ELi2EEEES22_NST_IJLi1ELi1ELi1ELi2EEEES20_S21_S22_S22_S23_S22_S24_NST_IJLi0ELi1ELi2ELi3ELi4ELi5EEEELi5ELi4EEEDF16_NS5_IJPKDF16_EEEDF16_S8_S8_S9_NSB_INS5_IJSE_SG_SI_SI_SI_SG_SG_SK_SK_SK_SG_SN_SN_SP_SP_SR_SG_SG_NSQ_INS5_IJiNS_17integral_constantIiLi128EEEEEELb0EEENSF_INS2A_IiLi2EEEEEEEENS5_IJSU_SV_SW_SX_SY_SZ_S10_S11_S12_S13_S14_S15_S16_S17_S18_S19_S1A_NST_IJLi23EEEES1J_NST_IJLi24EEEEEEENS5_IJS1C_S10_S11_S12_S13_S14_S1D_S1E_S1F_S1G_S1H_S17_S18_S1A_S19_S1I_S1J_NST_IJLi26EEEENST_IJLi27ELi28EEEENST_IJLi29EEEEEEENST_IJLi26ELi27ELi28ELi29EEEElEENSB_INS5_IJSR_SP_SP_SR_SG_SG_S2D_S2F_EEENS5_IJSU_SV_SW_SY_SX_SZ_S11_S10_EEENS5_IJS1P_SX_SY_S1Q_S11_S12_NST_IJLi9ELi10EEEES1D_EEENST_IJLi8ELi9ELi10ELi11EEEElEENS5_IJNSB_INS5_IJSK_SP_SP_NSQ_INS5_IJiS2E_NS2A_IiLi64EEEEEELb0EEES2Y_EEENS5_IJSU_SV_SW_SX_SY_EEENS5_IJS1P_SX_SY_NST_IJLi5ELi6ELi7EEEENST_IJLi8ELi9ELi10EEEEEEENST_IJLi5ELi6ELi7ELi8ELi9ELi10EEEElEEEEES35_NS_31BlockToCTileMap_M00_N00_M01_N01ILi128ELi128ES1Y_Lb0EEENS1_30ComputePtrOffsetOfStridedBatchILi1ELi1ELi1EvEELb0ELb1EEEvPKT0_S3D_T1_PT2_T3_T4_T5_iT6_T7_T8_T9_T10_T11_: ; @_ZN2ck16tensor_operation6device12_GLOBAL__N_137kernel_grouped_conv_fwd_dl_multiple_dINS_32GridwiseGemmDlMultipleD_km_kn_mnILi256EDF16_fNS_5TupleIJDF16_EEEDF16_NS0_12element_wise11PassThroughES8_NS7_7AddReluELNS_25InMemoryDataOperationEnumE0ENS_16TensorDescriptorINS5_IJNS_5EmbedINS5_IJiiiiiEEESD_Lb0EEENS_11PassThroughIiEENS_3PadIiiiLb0EEESI_SI_SG_SG_NSC_INS5_IJiiEEESJ_Lb0EEESK_SK_SG_NS_23Merge_v2_magic_divisionINS5_IJiiiiEEEEESN_NS_8RightPadIiiLb0EEESP_NS_7UnMergeISJ_Lb0EEESG_EEENS5_IJNS_8SequenceIJLi0EEEENST_IJLi1EEEENST_IJLi2EEEENST_IJLi3EEEENST_IJLi4EEEENST_IJLi5EEEENST_IJLi6EEEENST_IJLi7EEEENST_IJLi8EEEENST_IJLi9EEEENST_IJLi10EEEENST_IJLi11ELi13ELi15ELi17EEEENST_IJLi12ELi14ELi16ELi18EEEENST_IJLi19EEEENST_IJLi20EEEENST_IJLi22EEEENST_IJLi21EEEEEEENS5_IJNST_IJLi1ELi2ELi3ELi4ELi5EEEES10_S11_S12_S13_S14_NST_IJLi11EEEENST_IJLi12ELi13EEEENST_IJLi14ELi15EEEENST_IJLi16ELi17EEEENST_IJLi18EEEES17_S18_S1A_S19_NST_IJLi23ELi24EEEENST_IJLi25EEEEEEENST_IJLi23ELi25ELi24EEEElEENSB_INS5_IJSR_SP_SP_SR_SG_EEENS5_IJSU_SV_SW_SY_SX_EEENS5_IJNST_IJLi1ELi2EEEESX_SY_NST_IJLi5ELi6EEEES11_EEENST_IJLi5ELi7ELi6EEEElEENSB_INS5_IJSK_SP_SP_EEENS5_IJSU_SV_SW_EEENS5_IJS1P_SX_SY_EEENST_IJLi3ELi4EEEElEELi128ELi128ELi16ELi2ELi4ELi4ELi1ENST_IJLi8ELi2EEEES1Z_NST_IJLi8ELi1ELi1ELi2EEEENST_IJLi2ELi1ELi128ELi1EEEENST_IJLi1ELi2ELi0ELi3EEEES22_NST_IJLi4ELi1ELi1ELi2EEEES22_NST_IJLi1ELi1ELi1ELi2EEEES20_S21_S22_S22_S23_S22_S24_NST_IJLi0ELi1ELi2ELi3ELi4ELi5EEEELi5ELi4EEEDF16_NS5_IJPKDF16_EEEDF16_S8_S8_S9_NSB_INS5_IJSE_SG_SI_SI_SI_SG_SG_SK_SK_SK_SG_SN_SN_SP_SP_SR_SG_SG_NSQ_INS5_IJiNS_17integral_constantIiLi128EEEEEELb0EEENSF_INS2A_IiLi2EEEEEEEENS5_IJSU_SV_SW_SX_SY_SZ_S10_S11_S12_S13_S14_S15_S16_S17_S18_S19_S1A_NST_IJLi23EEEES1J_NST_IJLi24EEEEEEENS5_IJS1C_S10_S11_S12_S13_S14_S1D_S1E_S1F_S1G_S1H_S17_S18_S1A_S19_S1I_S1J_NST_IJLi26EEEENST_IJLi27ELi28EEEENST_IJLi29EEEEEEENST_IJLi26ELi27ELi28ELi29EEEElEENSB_INS5_IJSR_SP_SP_SR_SG_SG_S2D_S2F_EEENS5_IJSU_SV_SW_SY_SX_SZ_S11_S10_EEENS5_IJS1P_SX_SY_S1Q_S11_S12_NST_IJLi9ELi10EEEES1D_EEENST_IJLi8ELi9ELi10ELi11EEEElEENS5_IJNSB_INS5_IJSK_SP_SP_NSQ_INS5_IJiS2E_NS2A_IiLi64EEEEEELb0EEES2Y_EEENS5_IJSU_SV_SW_SX_SY_EEENS5_IJS1P_SX_SY_NST_IJLi5ELi6ELi7EEEENST_IJLi8ELi9ELi10EEEEEEENST_IJLi5ELi6ELi7ELi8ELi9ELi10EEEElEEEEES35_NS_31BlockToCTileMap_M00_N00_M01_N01ILi128ELi128ES1Y_Lb0EEENS1_30ComputePtrOffsetOfStridedBatchILi1ELi1ELi1EvEELb0ELb1EEEvPKT0_S3D_T1_PT2_T3_T4_T5_iT6_T7_T8_T9_T10_T11_
; %bb.0:
	s_load_dwordx8 s[24:31], s[0:1], 0x0
	s_load_dword s3, s[0:1], 0x24
	s_load_dwordx4 s[52:55], s[0:1], 0x3c
	s_load_dword s82, s[0:1], 0x4c
	s_load_dword s33, s[0:1], 0x58
	s_load_dwordx4 s[64:67], s[0:1], 0x54
	s_waitcnt lgkmcnt(0)
	s_abs_i32 s4, s3
	v_cvt_f32_u32_e32 v1, s4
	s_load_dword s65, s[0:1], 0x64
	s_load_dwordx4 s[68:71], s[0:1], 0x60
	s_load_dword s67, s[0:1], 0x70
	s_load_dwordx4 s[72:75], s[0:1], 0x6c
	s_load_dwordx2 s[34:35], s[0:1], 0xa8
	s_load_dword s5, s[0:1], 0x300
	s_sub_i32 s6, 0, s4
	v_rcp_iflag_f32_e32 v1, v1
	s_load_dwordx2 s[80:81], s[0:1], 0x88
	s_load_dwordx4 s[56:59], s[0:1], 0x98
	s_load_dwordx8 s[16:23], s[0:1], 0xb8
	v_lshrrev_b32_e32 v29, 1, v0
	s_waitcnt lgkmcnt(0)
	s_xor_b32 s3, s5, s3
	v_mul_f32_e32 v1, 0x4f7ffffe, v1
	v_cvt_u32_f32_e32 v1, v1
	s_abs_i32 s5, s5
	s_ashr_i32 s3, s3, 31
	v_lshrrev_b32_e32 v36, 5, v0
	v_readfirstlane_b32 s7, v1
	s_mul_i32 s6, s6, s7
	s_mul_hi_u32 s6, s7, s6
	s_add_i32 s7, s7, s6
	s_mul_hi_u32 s6, s5, s7
	s_mul_i32 s7, s6, s4
	s_sub_i32 s5, s5, s7
	s_add_i32 s7, s6, 1
	s_sub_i32 s8, s5, s4
	s_cmp_ge_u32 s5, s4
	s_cselect_b32 s6, s7, s6
	s_cselect_b32 s5, s8, s5
	s_add_i32 s7, s6, 1
	s_cmp_ge_u32 s5, s4
	s_cselect_b32 s4, s7, s6
	s_xor_b32 s4, s4, s3
	s_sub_i32 s3, s4, s3
	s_abs_i32 s19, s3
	v_cvt_f32_u32_e32 v1, s19
	s_load_dwordx4 s[4:7], s[0:1], 0xd8
	s_load_dwordx8 s[8:15], s[0:1], 0xec
	s_load_dwordx8 s[36:43], s[0:1], 0x29c
	s_waitcnt lgkmcnt(0)
	s_sub_i32 s11, 0, s19
	s_abs_i32 s7, s2
	v_rcp_iflag_f32_e32 v1, v1
	s_xor_b32 s3, s2, s3
	s_ashr_i32 s3, s3, 31
	s_load_dwordx4 s[76:79], s[0:1], 0x2c0
	s_load_dwordx8 s[44:51], s[0:1], 0x2d8
	v_mul_f32_e32 v1, 0x4f7ffffe, v1
	v_cvt_u32_f32_e32 v1, v1
	v_lshlrev_b32_e32 v38, 1, v0
	v_lshlrev_b32_e32 v37, 6, v36
	v_and_b32_e32 v39, 0x1f8, v38
	v_readfirstlane_b32 s15, v1
	s_mul_i32 s11, s11, s15
	s_mul_hi_u32 s11, s15, s11
	s_add_i32 s15, s15, s11
	s_mul_hi_u32 s11, s7, s15
	s_mul_i32 s15, s11, s19
	s_sub_i32 s7, s7, s15
	s_add_i32 s15, s11, 1
	s_sub_i32 s23, s7, s19
	s_cmp_ge_u32 s7, s19
	s_cselect_b32 s11, s15, s11
	s_cselect_b32 s7, s23, s7
	s_add_i32 s15, s11, 1
	s_cmp_ge_u32 s7, s19
	s_cselect_b32 s7, s15, s11
	s_xor_b32 s7, s7, s3
	s_sub_i32 s3, s7, s3
	s_ashr_i32 s7, s3, 31
	s_waitcnt lgkmcnt(0)
	s_mul_i32 s11, s44, s7
	s_mul_hi_u32 s15, s44, s3
	s_add_i32 s11, s15, s11
	s_mul_i32 s15, s45, s3
	s_add_i32 s59, s11, s15
	s_mul_i32 s11, s46, s7
	s_mul_hi_u32 s15, s46, s3
	s_add_i32 s11, s15, s11
	s_mul_i32 s15, s47, s3
	s_add_i32 s47, s11, s15
	;; [unrolled: 5-line block ×3, first 2 shown]
	s_mul_i32 s7, s48, s7
	s_mul_hi_u32 s11, s48, s3
	s_add_i32 s7, s11, s7
	s_mul_i32 s11, s49, s3
	s_mul_i32 s58, s44, s3
	s_add_i32 s45, s7, s11
	s_mul_i32 s44, s48, s3
	s_lshl_b64 s[44:45], s[44:45], 1
	s_add_u32 s44, s28, s44
	s_addc_u32 s23, s29, s45
	s_lshl_b64 s[28:29], s[58:59], 1
	s_mul_i32 s46, s46, s3
	s_add_u32 s28, s24, s28
	s_addc_u32 s29, s25, s29
	s_lshl_b64 s[24:25], s[46:47], 1
	s_mul_i32 s50, s50, s3
	s_add_u32 s48, s26, s24
	s_addc_u32 s3, s27, s25
	s_lshl_b64 s[24:25], s[50:51], 1
	s_add_u32 s24, s30, s24
	s_mul_hi_u32 s15, s43, s2
	s_addc_u32 s19, s31, s25
	s_add_i32 s15, s2, s15
	s_lshr_b32 s45, s15, s79
	s_mul_hi_u32 s15, s45, s42
	s_load_dwordx4 s[60:63], s[0:1], 0x10c
	s_load_dword s7, s[0:1], 0x120
	s_load_dword s11, s[0:1], 0x12c
	;; [unrolled: 1-line block ×3, first 2 shown]
	s_add_i32 s15, s45, s15
	s_lshr_b32 s15, s15, s78
	s_mul_hi_u32 s25, s15, s41
	s_add_i32 s25, s15, s25
	v_lshlrev_b32_e32 v1, 3, v0
	s_lshr_b32 s39, s25, s77
	v_and_b32_e32 v1, 8, v1
	s_mul_i32 s25, s39, s36
	s_mul_hi_u32 s26, s39, s40
	s_load_dwordx4 s[40:43], s[0:1], 0x298
	s_load_dword s31, s[0:1], 0x27c
	s_load_dword s46, s[0:1], 0x28c
	s_waitcnt lgkmcnt(0)
	v_mul_lo_u32 v30, s37, v1
	s_sub_i32 s47, s15, s25
	s_add_i32 s25, s39, s26
	v_mul_hi_u32 v2, v30, s14
	s_lshr_b32 s25, s25, s76
	v_add_u32_e32 v2, v30, v2
	s_mul_i32 s43, s25, s40
	v_lshrrev_b32_e32 v2, s62, v2
	s_mul_i32 s49, s15, s42
	s_sub_i32 s39, s39, s43
	v_mul_lo_u32 v3, v2, s10
	s_sub_i32 s43, s45, s49
	s_mul_i32 s39, s39, s31
	v_sub_u32_e32 v10, v30, v3
	v_mul_hi_u32 v3, v2, s13
	s_add_i32 s43, s43, s39
	v_add_u32_e32 v3, v2, v3
	s_lshl_b32 s39, s43, 7
	v_lshrrev_b32_e32 v3, s61, v3
	v_or_b32_e32 v31, s39, v29
	v_mul_hi_u32 v4, v3, s12
	v_mul_lo_u32 v5, v3, s9
	v_add_u32_e32 v4, v3, v4
	v_sub_u32_e32 v11, v2, v5
	v_mul_hi_u32 v2, v31, s22
	v_lshrrev_b32_e32 v13, s60, v4
	v_add_u32_e32 v2, v31, v2
	v_mul_lo_u32 v4, v13, s8
	v_lshrrev_b32_e32 v2, s6, v2
	v_sub_u32_e32 v14, v3, v4
	v_mul_hi_u32 v3, v2, s21
	v_add_u32_e32 v3, v2, v3
	v_lshrrev_b32_e32 v5, s5, v3
	v_mul_lo_u32 v3, v5, s17
	v_mul_lo_u32 v4, v2, s18
	v_sub_u32_e32 v3, v2, v3
	v_mul_hi_u32 v2, v5, s20
	v_sub_u32_e32 v6, v31, v4
	v_add_u32_e32 v7, v5, v2
	v_mul_lo_u32 v4, v11, s34
	v_mad_u64_u32 v[8:9], s[20:21], v6, s35, v[4:5]
	v_lshrrev_b32_e32 v7, s4, v7
	v_mul_lo_u32 v9, v7, s16
	v_sub_u32_e32 v5, v5, v9
	v_or_b32_e32 v9, 4, v1
	v_mul_lo_u32 v32, s37, v9
	v_mul_hi_u32 v9, v32, s14
	v_add_u32_e32 v9, v32, v9
	v_lshrrev_b32_e32 v12, s62, v9
	v_mul_lo_u32 v9, v12, s10
	v_mul_lo_u32 v2, v14, s56
	;; [unrolled: 1-line block ×3, first 2 shown]
	v_sub_u32_e32 v9, v32, v9
	v_mad_u64_u32 v[2:3], s[20:21], v3, s57, v[2:3]
	v_mad_u64_u32 v[26:27], s[4:5], v5, s81, v[4:5]
	v_mul_lo_u32 v5, v7, s52
	v_mul_lo_u32 v7, v10, s82
	v_sub_u32_e32 v15, v9, v10
	v_mul_hi_u32 v10, v12, s13
	v_subrev_u32_e32 v3, s65, v2
	v_subrev_u32_e32 v6, s67, v8
	v_add_u32_e32 v10, v12, v10
	v_subrev_u32_e32 v4, s33, v26
	v_mul_lo_u32 v3, v3, s54
	v_mul_lo_u32 v6, v6, s55
	v_lshrrev_b32_e32 v16, s61, v10
	v_mul_lo_u32 v4, v4, s53
	v_add3_u32 v3, v6, v7, v3
	v_mul_lo_u32 v10, v16, s9
	s_load_dword s30, s[0:1], 0x160
	s_load_dword s41, s[0:1], 0x170
	;; [unrolled: 1-line block ×6, first 2 shown]
	s_load_dwordx2 s[26:27], s[0:1], 0x1d0
	s_load_dword s15, s[0:1], 0x1dc
	v_add3_u32 v3, v3, v5, v4
	v_sub_u32_e32 v10, v12, v10
	s_waitcnt lgkmcnt(0)
	s_lshl_b32 s30, s30, 1
	s_and_b32 s29, s29, 0xffff
	s_mov_b32 s31, 0x20000
	v_lshlrev_b32_e32 v4, 1, v3
	v_sub_u32_e32 v17, v10, v11
	v_mul_hi_u32 v11, v16, s12
	buffer_load_dwordx4 v[4:7], v4, s[28:31], 0 offen
	v_add_u32_e32 v11, v16, v11
	v_lshrrev_b32_e32 v11, s60, v11
	v_mul_lo_u32 v12, v11, s8
	v_sub_u32_e32 v12, v16, v12
	v_sub_u32_e32 v13, v11, v13
	s_mul_i32 s38, s45, s38
	v_sub_u32_e32 v14, v12, v14
	v_mul_lo_u32 v33, v17, s34
	v_mul_lo_u32 v35, v13, s80
	s_sub_i32 s2, s2, s38
	s_mul_i32 s47, s47, s46
	v_mul_lo_u32 v34, v14, s56
	v_mul_lo_u32 v13, v35, s53
	;; [unrolled: 1-line block ×4, first 2 shown]
	s_add_i32 s2, s2, s47
	v_mul_lo_u32 v14, v34, s54
	v_add3_u32 v13, v16, v15, v13
	s_lshl_b32 s16, s2, 7
	v_add3_u32 v13, v13, v14, v3
	v_or_b32_e32 v27, s16, v29
	v_mul_lo_u32 v28, s36, v1
	v_lshlrev_b32_e32 v3, 1, v13
	buffer_load_dwordx4 v[14:17], v3, s[28:31], 0 offen
	v_mad_u64_u32 v[22:23], s[4:5], v27, s41, v[28:29]
	s_lshl_b32 s50, s42, 1
	s_and_b32 s49, s3, 0xffff
	s_mov_b32 s51, s31
	v_lshlrev_b32_e32 v3, 1, v22
	s_lshl_b32 s17, s36, 2
	buffer_load_dwordx4 v[18:21], v3, s[48:51], 0 offen
	v_add_u32_e32 v3, s17, v22
	v_lshlrev_b32_e32 v22, 1, v3
	buffer_load_dwordx4 v[22:25], v22, s[48:51], 0 offen
	s_sub_i32 s18, s72, s74
	v_cmp_gt_i32_e64 s[2:3], s11, v30
	v_cmp_gt_i32_e32 vcc, s7, v31
	v_cmp_gt_i32_e64 s[6:7], s18, v8
	v_cmp_le_i32_e64 s[4:5], s67, v8
	s_and_b64 s[2:3], s[6:7], s[2:3]
	s_sub_i32 s21, s68, s70
	s_and_b64 s[6:7], s[2:3], s[4:5]
	v_cmp_le_i32_e64 s[2:3], s65, v2
	v_cmp_gt_i32_e64 s[4:5], s21, v2
	s_and_b64 s[2:3], s[2:3], s[4:5]
	s_sub_i32 s20, s64, s66
	s_and_b64 s[6:7], s[6:7], s[2:3]
	v_cmp_le_i32_e64 s[2:3], s33, v26
	v_cmp_gt_i32_e64 s[4:5], s20, v26
	s_and_b64 s[2:3], s[2:3], s[4:5]
	s_and_b64 s[2:3], s[6:7], s[2:3]
	v_sub_u32_e32 v37, v39, v37
	v_lshlrev_b32_e32 v0, 2, v0
	s_and_b64 s[2:3], vcc, s[2:3]
	v_and_or_b32 v80, v0, 4, v37
	v_lshlrev_b32_e32 v0, 3, v36
	v_and_or_b32 v81, v38, 4, v0
	v_lshlrev_b32_e32 v0, 2, v29
	v_lshl_or_b32 v0, v1, 9, v0
	v_mov_b32_e32 v62, 0
	v_mov_b32_e32 v63, 0
	;; [unrolled: 1-line block ×19, first 2 shown]
	s_waitcnt vmcnt(3)
	v_cndmask_b32_e64 v36, 0, v5, s[2:3]
	v_add_u32_e32 v5, v8, v33
	v_cndmask_b32_e64 v30, 0, v7, s[2:3]
	v_cndmask_b32_e64 v31, 0, v6, s[2:3]
	;; [unrolled: 1-line block ×3, first 2 shown]
	v_cmp_gt_i32_e64 s[2:3], s11, v32
	v_cmp_gt_i32_e64 s[6:7], s18, v5
	v_add_u32_e32 v6, v2, v34
	v_cmp_le_i32_e64 s[4:5], s67, v5
	s_and_b64 s[2:3], s[6:7], s[2:3]
	s_and_b64 s[6:7], s[2:3], s[4:5]
	v_cmp_le_i32_e64 s[2:3], s65, v6
	v_cmp_gt_i32_e64 s[4:5], s21, v6
	v_add_u32_e32 v7, v26, v35
	s_and_b64 s[2:3], s[2:3], s[4:5]
	s_and_b64 s[6:7], s[6:7], s[2:3]
	v_cmp_le_i32_e64 s[2:3], s33, v7
	v_cmp_gt_i32_e64 s[4:5], s20, v7
	s_and_b64 s[2:3], s[2:3], s[4:5]
	s_and_b64 s[2:3], s[6:7], s[2:3]
	s_and_b64 s[2:3], vcc, s[2:3]
	v_cmp_gt_i32_e64 s[4:5], s25, v28
	v_add_u32_e32 v2, s17, v28
	v_mov_b32_e32 v79, 0
	s_waitcnt vmcnt(2)
	v_cndmask_b32_e64 v8, 0, v17, s[2:3]
	v_cndmask_b32_e64 v16, 0, v16, s[2:3]
	;; [unrolled: 1-line block ×4, first 2 shown]
	v_cmp_gt_i32_e64 s[2:3], s40, v27
	s_and_b64 s[4:5], s[4:5], s[2:3]
	v_mov_b32_e32 v66, 0
	v_mov_b32_e32 v67, 0
	s_waitcnt vmcnt(1)
	v_cndmask_b32_e64 v17, 0, v21, s[4:5]
	v_cndmask_b32_e64 v20, 0, v20, s[4:5]
	;; [unrolled: 1-line block ×4, first 2 shown]
	v_cmp_gt_i32_e64 s[4:5], s25, v2
	s_and_b64 s[4:5], s[4:5], s[2:3]
	v_mov_b32_e32 v64, 0
	s_waitcnt vmcnt(0)
	v_cndmask_b32_e64 v21, 0, v25, s[4:5]
	v_cndmask_b32_e64 v24, 0, v24, s[4:5]
	;; [unrolled: 1-line block ×4, first 2 shown]
	ds_write2st64_b32 v0, v4, v36 offset1:2
	ds_write2st64_b32 v0, v31, v30 offset0:4 offset1:6
	ds_write2st64_b32 v0, v14, v15 offset0:8 offset1:10
	;; [unrolled: 1-line block ×7, first 2 shown]
	v_lshlrev_b32_e32 v8, 2, v81
	s_waitcnt lgkmcnt(0)
	s_barrier
	ds_read_b128 v[14:17], v8
	v_lshlrev_b32_e32 v4, 2, v80
	ds_read_b128 v[20:23], v4 offset:16384
	ds_read_b128 v[82:85], v4 offset:16640
	;; [unrolled: 1-line block ×3, first 2 shown]
	v_mov_b32_e32 v65, 0
	v_mov_b32_e32 v18, 0
	s_waitcnt lgkmcnt(2)
	v_dot2c_f32_f16_e32 v62, v16, v20
	v_dot2c_f32_f16_e32 v63, v16, v21
	;; [unrolled: 1-line block ×8, first 2 shown]
	s_waitcnt lgkmcnt(1)
	v_dot2c_f32_f16_e32 v60, v16, v82
	v_dot2c_f32_f16_e32 v61, v16, v83
	;; [unrolled: 1-line block ×8, first 2 shown]
	v_mov_b32_e32 v19, 0
	v_mov_b32_e32 v16, 0
	;; [unrolled: 1-line block ×16, first 2 shown]
	v_dot2c_f32_f16_e32 v76, v14, v20
	v_dot2c_f32_f16_e32 v77, v14, v21
	;; [unrolled: 1-line block ×8, first 2 shown]
	v_mov_b32_e32 v74, 0
	v_mov_b32_e32 v75, 0
	;; [unrolled: 1-line block ×8, first 2 shown]
	s_waitcnt lgkmcnt(0)
	v_dot2c_f32_f16_e32 v18, v86, v20
	v_dot2c_f32_f16_e32 v19, v86, v21
	;; [unrolled: 1-line block ×16, first 2 shown]
	v_mov_b32_e32 v22, 0
	v_mov_b32_e32 v23, 0
	;; [unrolled: 1-line block ×15, first 2 shown]
	v_dot2c_f32_f16_e32 v74, v14, v82
	v_dot2c_f32_f16_e32 v75, v14, v83
	;; [unrolled: 1-line block ×8, first 2 shown]
	ds_read_b128 v[90:93], v8 offset:512
	ds_read_b128 v[94:97], v4 offset:16896
	v_dot2c_f32_f16_e32 v22, v86, v82
	v_dot2c_f32_f16_e32 v23, v86, v83
	;; [unrolled: 1-line block ×16, first 2 shown]
	ds_read_b128 v[82:85], v4 offset:17152
	ds_read_b128 v[86:89], v8 offset:768
	s_waitcnt lgkmcnt(2)
	v_dot2c_f32_f16_e32 v76, v90, v94
	v_dot2c_f32_f16_e32 v77, v90, v95
	v_dot2c_f32_f16_e32 v78, v90, v96
	v_dot2c_f32_f16_e32 v79, v90, v97
	v_dot2c_f32_f16_e32 v66, v91, v94
	v_dot2c_f32_f16_e32 v67, v91, v95
	v_dot2c_f32_f16_e32 v64, v91, v96
	v_dot2c_f32_f16_e32 v65, v91, v97
	v_dot2c_f32_f16_e32 v62, v92, v94
	v_dot2c_f32_f16_e32 v63, v92, v95
	v_dot2c_f32_f16_e32 v58, v92, v96
	v_dot2c_f32_f16_e32 v59, v92, v97
	v_dot2c_f32_f16_e32 v44, v93, v94
	v_dot2c_f32_f16_e32 v45, v93, v95
	v_dot2c_f32_f16_e32 v42, v93, v96
	v_dot2c_f32_f16_e32 v43, v93, v97
	s_waitcnt lgkmcnt(1)
	v_dot2c_f32_f16_e32 v74, v90, v82
	v_dot2c_f32_f16_e32 v75, v90, v83
	v_dot2c_f32_f16_e32 v72, v90, v84
	v_dot2c_f32_f16_e32 v73, v90, v85
	v_dot2c_f32_f16_e32 v68, v91, v82
	v_dot2c_f32_f16_e32 v69, v91, v83
	v_dot2c_f32_f16_e32 v70, v91, v84
	v_dot2c_f32_f16_e32 v71, v91, v85
	v_dot2c_f32_f16_e32 v60, v92, v82
	v_dot2c_f32_f16_e32 v61, v92, v83
	v_dot2c_f32_f16_e32 v56, v92, v84
	v_dot2c_f32_f16_e32 v57, v92, v85
	v_dot2c_f32_f16_e32 v54, v93, v82
	v_dot2c_f32_f16_e32 v55, v93, v83
	v_dot2c_f32_f16_e32 v52, v93, v84
	v_dot2c_f32_f16_e32 v53, v93, v85
	;; [unrolled: 17-line block ×3, first 2 shown]
	ds_read_b128 v[90:93], v8 offset:1024
	ds_read_b128 v[94:97], v4 offset:17408
	v_dot2c_f32_f16_e32 v22, v86, v82
	v_dot2c_f32_f16_e32 v23, v86, v83
	;; [unrolled: 1-line block ×16, first 2 shown]
	ds_read_b128 v[82:85], v4 offset:17664
	ds_read_b128 v[86:89], v8 offset:1280
	s_waitcnt lgkmcnt(2)
	v_dot2c_f32_f16_e32 v76, v90, v94
	v_dot2c_f32_f16_e32 v77, v90, v95
	v_dot2c_f32_f16_e32 v78, v90, v96
	v_dot2c_f32_f16_e32 v79, v90, v97
	v_dot2c_f32_f16_e32 v66, v91, v94
	v_dot2c_f32_f16_e32 v67, v91, v95
	v_dot2c_f32_f16_e32 v64, v91, v96
	v_dot2c_f32_f16_e32 v65, v91, v97
	v_dot2c_f32_f16_e32 v62, v92, v94
	v_dot2c_f32_f16_e32 v63, v92, v95
	v_dot2c_f32_f16_e32 v58, v92, v96
	v_dot2c_f32_f16_e32 v59, v92, v97
	v_dot2c_f32_f16_e32 v44, v93, v94
	v_dot2c_f32_f16_e32 v45, v93, v95
	v_dot2c_f32_f16_e32 v42, v93, v96
	v_dot2c_f32_f16_e32 v43, v93, v97
	s_waitcnt lgkmcnt(1)
	v_dot2c_f32_f16_e32 v74, v90, v82
	v_dot2c_f32_f16_e32 v75, v90, v83
	v_dot2c_f32_f16_e32 v72, v90, v84
	v_dot2c_f32_f16_e32 v73, v90, v85
	v_dot2c_f32_f16_e32 v68, v91, v82
	v_dot2c_f32_f16_e32 v69, v91, v83
	v_dot2c_f32_f16_e32 v70, v91, v84
	v_dot2c_f32_f16_e32 v71, v91, v85
	v_dot2c_f32_f16_e32 v60, v92, v82
	v_dot2c_f32_f16_e32 v61, v92, v83
	v_dot2c_f32_f16_e32 v56, v92, v84
	v_dot2c_f32_f16_e32 v57, v92, v85
	v_dot2c_f32_f16_e32 v54, v93, v82
	v_dot2c_f32_f16_e32 v55, v93, v83
	v_dot2c_f32_f16_e32 v52, v93, v84
	v_dot2c_f32_f16_e32 v53, v93, v85
	;; [unrolled: 17-line block ×3, first 2 shown]
	ds_read_b128 v[90:93], v8 offset:1536
	ds_read_b128 v[94:97], v4 offset:17920
	v_dot2c_f32_f16_e32 v22, v86, v82
	v_dot2c_f32_f16_e32 v23, v86, v83
	;; [unrolled: 1-line block ×16, first 2 shown]
	ds_read_b128 v[82:85], v4 offset:18176
	ds_read_b128 v[86:89], v8 offset:1792
	s_waitcnt lgkmcnt(2)
	v_dot2c_f32_f16_e32 v76, v90, v94
	v_dot2c_f32_f16_e32 v77, v90, v95
	v_dot2c_f32_f16_e32 v78, v90, v96
	v_dot2c_f32_f16_e32 v79, v90, v97
	v_dot2c_f32_f16_e32 v66, v91, v94
	v_dot2c_f32_f16_e32 v67, v91, v95
	v_dot2c_f32_f16_e32 v64, v91, v96
	v_dot2c_f32_f16_e32 v65, v91, v97
	v_dot2c_f32_f16_e32 v62, v92, v94
	v_dot2c_f32_f16_e32 v63, v92, v95
	v_dot2c_f32_f16_e32 v58, v92, v96
	v_dot2c_f32_f16_e32 v59, v92, v97
	v_dot2c_f32_f16_e32 v44, v93, v94
	v_dot2c_f32_f16_e32 v45, v93, v95
	v_dot2c_f32_f16_e32 v42, v93, v96
	v_dot2c_f32_f16_e32 v43, v93, v97
	s_waitcnt lgkmcnt(1)
	v_dot2c_f32_f16_e32 v74, v90, v82
	v_dot2c_f32_f16_e32 v75, v90, v83
	v_dot2c_f32_f16_e32 v72, v90, v84
	v_dot2c_f32_f16_e32 v73, v90, v85
	v_dot2c_f32_f16_e32 v68, v91, v82
	v_dot2c_f32_f16_e32 v69, v91, v83
	v_dot2c_f32_f16_e32 v70, v91, v84
	v_dot2c_f32_f16_e32 v71, v91, v85
	v_dot2c_f32_f16_e32 v60, v92, v82
	v_dot2c_f32_f16_e32 v61, v92, v83
	v_dot2c_f32_f16_e32 v56, v92, v84
	v_dot2c_f32_f16_e32 v57, v92, v85
	v_dot2c_f32_f16_e32 v54, v93, v82
	v_dot2c_f32_f16_e32 v55, v93, v83
	v_dot2c_f32_f16_e32 v52, v93, v84
	v_dot2c_f32_f16_e32 v53, v93, v85
	;; [unrolled: 17-line block ×3, first 2 shown]
	ds_read_b128 v[90:93], v8 offset:2048
	ds_read_b128 v[94:97], v4 offset:18432
	v_dot2c_f32_f16_e32 v22, v86, v82
	v_dot2c_f32_f16_e32 v23, v86, v83
	;; [unrolled: 1-line block ×16, first 2 shown]
	ds_read_b128 v[82:85], v4 offset:18688
	ds_read_b128 v[86:89], v8 offset:2304
	s_waitcnt lgkmcnt(2)
	v_dot2c_f32_f16_e32 v76, v90, v94
	v_dot2c_f32_f16_e32 v77, v90, v95
	v_dot2c_f32_f16_e32 v78, v90, v96
	v_dot2c_f32_f16_e32 v79, v90, v97
	v_dot2c_f32_f16_e32 v66, v91, v94
	v_dot2c_f32_f16_e32 v67, v91, v95
	v_dot2c_f32_f16_e32 v64, v91, v96
	v_dot2c_f32_f16_e32 v65, v91, v97
	v_dot2c_f32_f16_e32 v62, v92, v94
	v_dot2c_f32_f16_e32 v63, v92, v95
	v_dot2c_f32_f16_e32 v58, v92, v96
	v_dot2c_f32_f16_e32 v59, v92, v97
	v_dot2c_f32_f16_e32 v44, v93, v94
	v_dot2c_f32_f16_e32 v45, v93, v95
	v_dot2c_f32_f16_e32 v42, v93, v96
	v_dot2c_f32_f16_e32 v43, v93, v97
	s_waitcnt lgkmcnt(1)
	v_dot2c_f32_f16_e32 v74, v90, v82
	v_dot2c_f32_f16_e32 v75, v90, v83
	v_dot2c_f32_f16_e32 v72, v90, v84
	v_dot2c_f32_f16_e32 v73, v90, v85
	v_dot2c_f32_f16_e32 v68, v91, v82
	v_dot2c_f32_f16_e32 v69, v91, v83
	v_dot2c_f32_f16_e32 v70, v91, v84
	v_dot2c_f32_f16_e32 v71, v91, v85
	v_dot2c_f32_f16_e32 v60, v92, v82
	v_dot2c_f32_f16_e32 v61, v92, v83
	v_dot2c_f32_f16_e32 v56, v92, v84
	v_dot2c_f32_f16_e32 v57, v92, v85
	v_dot2c_f32_f16_e32 v54, v93, v82
	v_dot2c_f32_f16_e32 v55, v93, v83
	v_dot2c_f32_f16_e32 v52, v93, v84
	v_dot2c_f32_f16_e32 v53, v93, v85
	;; [unrolled: 17-line block ×3, first 2 shown]
	ds_read_b128 v[90:93], v8 offset:2560
	ds_read_b128 v[94:97], v4 offset:18944
	v_dot2c_f32_f16_e32 v22, v86, v82
	v_dot2c_f32_f16_e32 v23, v86, v83
	v_dot2c_f32_f16_e32 v20, v86, v84
	v_dot2c_f32_f16_e32 v21, v86, v85
	v_dot2c_f32_f16_e32 v28, v87, v82
	v_dot2c_f32_f16_e32 v29, v87, v83
	v_dot2c_f32_f16_e32 v24, v87, v84
	v_dot2c_f32_f16_e32 v25, v87, v85
	v_dot2c_f32_f16_e32 v40, v88, v82
	v_dot2c_f32_f16_e32 v41, v88, v83
	v_dot2c_f32_f16_e32 v38, v88, v84
	v_dot2c_f32_f16_e32 v39, v88, v85
	v_dot2c_f32_f16_e32 v48, v89, v82
	v_dot2c_f32_f16_e32 v49, v89, v83
	v_dot2c_f32_f16_e32 v32, v89, v84
	v_dot2c_f32_f16_e32 v33, v89, v85
	ds_read_b128 v[82:85], v4 offset:19200
	ds_read_b128 v[86:89], v8 offset:2816
	s_waitcnt lgkmcnt(2)
	v_dot2c_f32_f16_e32 v76, v90, v94
	v_dot2c_f32_f16_e32 v77, v90, v95
	v_dot2c_f32_f16_e32 v78, v90, v96
	v_dot2c_f32_f16_e32 v79, v90, v97
	v_dot2c_f32_f16_e32 v66, v91, v94
	v_dot2c_f32_f16_e32 v67, v91, v95
	v_dot2c_f32_f16_e32 v64, v91, v96
	v_dot2c_f32_f16_e32 v65, v91, v97
	v_dot2c_f32_f16_e32 v62, v92, v94
	v_dot2c_f32_f16_e32 v63, v92, v95
	v_dot2c_f32_f16_e32 v58, v92, v96
	v_dot2c_f32_f16_e32 v59, v92, v97
	v_dot2c_f32_f16_e32 v44, v93, v94
	v_dot2c_f32_f16_e32 v45, v93, v95
	v_dot2c_f32_f16_e32 v42, v93, v96
	v_dot2c_f32_f16_e32 v43, v93, v97
	s_waitcnt lgkmcnt(1)
	v_dot2c_f32_f16_e32 v74, v90, v82
	v_dot2c_f32_f16_e32 v75, v90, v83
	v_dot2c_f32_f16_e32 v72, v90, v84
	v_dot2c_f32_f16_e32 v73, v90, v85
	v_dot2c_f32_f16_e32 v68, v91, v82
	v_dot2c_f32_f16_e32 v69, v91, v83
	v_dot2c_f32_f16_e32 v70, v91, v84
	v_dot2c_f32_f16_e32 v71, v91, v85
	v_dot2c_f32_f16_e32 v60, v92, v82
	v_dot2c_f32_f16_e32 v61, v92, v83
	v_dot2c_f32_f16_e32 v56, v92, v84
	v_dot2c_f32_f16_e32 v57, v92, v85
	v_dot2c_f32_f16_e32 v54, v93, v82
	v_dot2c_f32_f16_e32 v55, v93, v83
	v_dot2c_f32_f16_e32 v52, v93, v84
	v_dot2c_f32_f16_e32 v53, v93, v85
	;; [unrolled: 17-line block ×3, first 2 shown]
	ds_read_b128 v[90:93], v8 offset:3072
	ds_read_b128 v[94:97], v4 offset:19456
	v_dot2c_f32_f16_e32 v22, v86, v82
	v_dot2c_f32_f16_e32 v23, v86, v83
	;; [unrolled: 1-line block ×16, first 2 shown]
	ds_read_b128 v[82:85], v4 offset:19712
	ds_read_b128 v[86:89], v8 offset:3328
	s_waitcnt lgkmcnt(2)
	v_dot2c_f32_f16_e32 v76, v90, v94
	v_dot2c_f32_f16_e32 v77, v90, v95
	v_dot2c_f32_f16_e32 v78, v90, v96
	v_dot2c_f32_f16_e32 v79, v90, v97
	v_dot2c_f32_f16_e32 v66, v91, v94
	v_dot2c_f32_f16_e32 v67, v91, v95
	v_dot2c_f32_f16_e32 v64, v91, v96
	v_dot2c_f32_f16_e32 v65, v91, v97
	v_dot2c_f32_f16_e32 v62, v92, v94
	v_dot2c_f32_f16_e32 v63, v92, v95
	v_dot2c_f32_f16_e32 v58, v92, v96
	v_dot2c_f32_f16_e32 v59, v92, v97
	v_dot2c_f32_f16_e32 v44, v93, v94
	v_dot2c_f32_f16_e32 v45, v93, v95
	v_dot2c_f32_f16_e32 v42, v93, v96
	v_dot2c_f32_f16_e32 v43, v93, v97
	s_waitcnt lgkmcnt(1)
	v_dot2c_f32_f16_e32 v74, v90, v82
	v_dot2c_f32_f16_e32 v75, v90, v83
	v_dot2c_f32_f16_e32 v72, v90, v84
	v_dot2c_f32_f16_e32 v73, v90, v85
	v_dot2c_f32_f16_e32 v68, v91, v82
	v_dot2c_f32_f16_e32 v69, v91, v83
	v_dot2c_f32_f16_e32 v70, v91, v84
	v_dot2c_f32_f16_e32 v71, v91, v85
	v_dot2c_f32_f16_e32 v60, v92, v82
	v_dot2c_f32_f16_e32 v61, v92, v83
	v_dot2c_f32_f16_e32 v56, v92, v84
	v_dot2c_f32_f16_e32 v57, v92, v85
	v_dot2c_f32_f16_e32 v54, v93, v82
	v_dot2c_f32_f16_e32 v55, v93, v83
	v_dot2c_f32_f16_e32 v52, v93, v84
	v_dot2c_f32_f16_e32 v53, v93, v85
	;; [unrolled: 17-line block ×3, first 2 shown]
	ds_read_b128 v[90:93], v8 offset:3584
	ds_read_b128 v[94:97], v4 offset:19968
	v_dot2c_f32_f16_e32 v22, v86, v82
	v_dot2c_f32_f16_e32 v23, v86, v83
	;; [unrolled: 1-line block ×16, first 2 shown]
	ds_read_b128 v[82:85], v4 offset:20224
	ds_read_b128 v[86:89], v8 offset:3840
	s_waitcnt lgkmcnt(2)
	v_dot2c_f32_f16_e32 v76, v90, v94
	v_dot2c_f32_f16_e32 v77, v90, v95
	v_dot2c_f32_f16_e32 v78, v90, v96
	v_dot2c_f32_f16_e32 v79, v90, v97
	v_dot2c_f32_f16_e32 v66, v91, v94
	v_dot2c_f32_f16_e32 v67, v91, v95
	v_dot2c_f32_f16_e32 v64, v91, v96
	v_dot2c_f32_f16_e32 v65, v91, v97
	v_dot2c_f32_f16_e32 v62, v92, v94
	v_dot2c_f32_f16_e32 v63, v92, v95
	v_dot2c_f32_f16_e32 v58, v92, v96
	v_dot2c_f32_f16_e32 v59, v92, v97
	v_dot2c_f32_f16_e32 v44, v93, v94
	v_dot2c_f32_f16_e32 v45, v93, v95
	v_dot2c_f32_f16_e32 v42, v93, v96
	v_dot2c_f32_f16_e32 v43, v93, v97
	s_waitcnt lgkmcnt(1)
	v_dot2c_f32_f16_e32 v74, v90, v82
	v_dot2c_f32_f16_e32 v75, v90, v83
	v_dot2c_f32_f16_e32 v72, v90, v84
	v_dot2c_f32_f16_e32 v73, v90, v85
	v_dot2c_f32_f16_e32 v68, v91, v82
	v_dot2c_f32_f16_e32 v69, v91, v83
	v_dot2c_f32_f16_e32 v70, v91, v84
	v_dot2c_f32_f16_e32 v71, v91, v85
	v_dot2c_f32_f16_e32 v60, v92, v82
	v_dot2c_f32_f16_e32 v61, v92, v83
	v_dot2c_f32_f16_e32 v56, v92, v84
	v_dot2c_f32_f16_e32 v57, v92, v85
	v_dot2c_f32_f16_e32 v54, v93, v82
	v_dot2c_f32_f16_e32 v55, v93, v83
	v_dot2c_f32_f16_e32 v52, v93, v84
	v_dot2c_f32_f16_e32 v53, v93, v85
	;; [unrolled: 17-line block ×3, first 2 shown]
	ds_read_b128 v[90:93], v8 offset:4096
	ds_read_b128 v[94:97], v4 offset:20480
	v_dot2c_f32_f16_e32 v22, v86, v82
	v_dot2c_f32_f16_e32 v23, v86, v83
	;; [unrolled: 1-line block ×16, first 2 shown]
	ds_read_b128 v[82:85], v4 offset:20736
	ds_read_b128 v[86:89], v8 offset:4352
	s_waitcnt lgkmcnt(2)
	v_dot2c_f32_f16_e32 v76, v90, v94
	v_dot2c_f32_f16_e32 v77, v90, v95
	v_dot2c_f32_f16_e32 v78, v90, v96
	v_dot2c_f32_f16_e32 v79, v90, v97
	v_dot2c_f32_f16_e32 v66, v91, v94
	v_dot2c_f32_f16_e32 v67, v91, v95
	v_dot2c_f32_f16_e32 v64, v91, v96
	v_dot2c_f32_f16_e32 v65, v91, v97
	v_dot2c_f32_f16_e32 v62, v92, v94
	v_dot2c_f32_f16_e32 v63, v92, v95
	v_dot2c_f32_f16_e32 v58, v92, v96
	v_dot2c_f32_f16_e32 v59, v92, v97
	v_dot2c_f32_f16_e32 v44, v93, v94
	v_dot2c_f32_f16_e32 v45, v93, v95
	v_dot2c_f32_f16_e32 v42, v93, v96
	v_dot2c_f32_f16_e32 v43, v93, v97
	s_waitcnt lgkmcnt(1)
	v_dot2c_f32_f16_e32 v74, v90, v82
	v_dot2c_f32_f16_e32 v75, v90, v83
	v_dot2c_f32_f16_e32 v72, v90, v84
	v_dot2c_f32_f16_e32 v73, v90, v85
	v_dot2c_f32_f16_e32 v68, v91, v82
	v_dot2c_f32_f16_e32 v69, v91, v83
	v_dot2c_f32_f16_e32 v70, v91, v84
	v_dot2c_f32_f16_e32 v71, v91, v85
	v_dot2c_f32_f16_e32 v60, v92, v82
	v_dot2c_f32_f16_e32 v61, v92, v83
	v_dot2c_f32_f16_e32 v56, v92, v84
	v_dot2c_f32_f16_e32 v57, v92, v85
	v_dot2c_f32_f16_e32 v54, v93, v82
	v_dot2c_f32_f16_e32 v55, v93, v83
	v_dot2c_f32_f16_e32 v52, v93, v84
	v_dot2c_f32_f16_e32 v53, v93, v85
	;; [unrolled: 17-line block ×3, first 2 shown]
	ds_read_b128 v[90:93], v8 offset:4608
	ds_read_b128 v[94:97], v4 offset:20992
	v_dot2c_f32_f16_e32 v22, v86, v82
	v_dot2c_f32_f16_e32 v23, v86, v83
	;; [unrolled: 1-line block ×16, first 2 shown]
	ds_read_b128 v[82:85], v4 offset:21248
	ds_read_b128 v[86:89], v8 offset:4864
	s_waitcnt lgkmcnt(2)
	v_dot2c_f32_f16_e32 v76, v90, v94
	v_dot2c_f32_f16_e32 v77, v90, v95
	v_dot2c_f32_f16_e32 v78, v90, v96
	v_dot2c_f32_f16_e32 v79, v90, v97
	v_dot2c_f32_f16_e32 v66, v91, v94
	v_dot2c_f32_f16_e32 v67, v91, v95
	v_dot2c_f32_f16_e32 v64, v91, v96
	v_dot2c_f32_f16_e32 v65, v91, v97
	v_dot2c_f32_f16_e32 v62, v92, v94
	v_dot2c_f32_f16_e32 v63, v92, v95
	v_dot2c_f32_f16_e32 v58, v92, v96
	v_dot2c_f32_f16_e32 v59, v92, v97
	v_dot2c_f32_f16_e32 v44, v93, v94
	v_dot2c_f32_f16_e32 v45, v93, v95
	v_dot2c_f32_f16_e32 v42, v93, v96
	v_dot2c_f32_f16_e32 v43, v93, v97
	s_waitcnt lgkmcnt(1)
	v_dot2c_f32_f16_e32 v74, v90, v82
	v_dot2c_f32_f16_e32 v75, v90, v83
	v_dot2c_f32_f16_e32 v72, v90, v84
	v_dot2c_f32_f16_e32 v73, v90, v85
	v_dot2c_f32_f16_e32 v68, v91, v82
	v_dot2c_f32_f16_e32 v69, v91, v83
	v_dot2c_f32_f16_e32 v70, v91, v84
	v_dot2c_f32_f16_e32 v71, v91, v85
	v_dot2c_f32_f16_e32 v60, v92, v82
	v_dot2c_f32_f16_e32 v61, v92, v83
	v_dot2c_f32_f16_e32 v56, v92, v84
	v_dot2c_f32_f16_e32 v57, v92, v85
	v_dot2c_f32_f16_e32 v54, v93, v82
	v_dot2c_f32_f16_e32 v55, v93, v83
	v_dot2c_f32_f16_e32 v52, v93, v84
	v_dot2c_f32_f16_e32 v53, v93, v85
	;; [unrolled: 17-line block ×3, first 2 shown]
	ds_read_b128 v[90:93], v8 offset:5120
	ds_read_b128 v[94:97], v4 offset:21504
	v_dot2c_f32_f16_e32 v22, v86, v82
	v_dot2c_f32_f16_e32 v23, v86, v83
	v_dot2c_f32_f16_e32 v20, v86, v84
	v_dot2c_f32_f16_e32 v21, v86, v85
	v_dot2c_f32_f16_e32 v28, v87, v82
	v_dot2c_f32_f16_e32 v29, v87, v83
	v_dot2c_f32_f16_e32 v24, v87, v84
	v_dot2c_f32_f16_e32 v25, v87, v85
	v_dot2c_f32_f16_e32 v40, v88, v82
	v_dot2c_f32_f16_e32 v41, v88, v83
	v_dot2c_f32_f16_e32 v38, v88, v84
	v_dot2c_f32_f16_e32 v39, v88, v85
	v_dot2c_f32_f16_e32 v48, v89, v82
	v_dot2c_f32_f16_e32 v49, v89, v83
	v_dot2c_f32_f16_e32 v32, v89, v84
	v_dot2c_f32_f16_e32 v33, v89, v85
	ds_read_b128 v[82:85], v4 offset:21760
	ds_read_b128 v[86:89], v8 offset:5376
	s_waitcnt lgkmcnt(2)
	v_dot2c_f32_f16_e32 v76, v90, v94
	v_dot2c_f32_f16_e32 v77, v90, v95
	v_dot2c_f32_f16_e32 v78, v90, v96
	v_dot2c_f32_f16_e32 v79, v90, v97
	v_dot2c_f32_f16_e32 v66, v91, v94
	v_dot2c_f32_f16_e32 v67, v91, v95
	v_dot2c_f32_f16_e32 v64, v91, v96
	v_dot2c_f32_f16_e32 v65, v91, v97
	v_dot2c_f32_f16_e32 v62, v92, v94
	v_dot2c_f32_f16_e32 v63, v92, v95
	v_dot2c_f32_f16_e32 v58, v92, v96
	v_dot2c_f32_f16_e32 v59, v92, v97
	v_dot2c_f32_f16_e32 v44, v93, v94
	v_dot2c_f32_f16_e32 v45, v93, v95
	v_dot2c_f32_f16_e32 v42, v93, v96
	v_dot2c_f32_f16_e32 v43, v93, v97
	s_waitcnt lgkmcnt(1)
	v_dot2c_f32_f16_e32 v74, v90, v82
	v_dot2c_f32_f16_e32 v75, v90, v83
	v_dot2c_f32_f16_e32 v72, v90, v84
	v_dot2c_f32_f16_e32 v73, v90, v85
	v_dot2c_f32_f16_e32 v68, v91, v82
	v_dot2c_f32_f16_e32 v69, v91, v83
	v_dot2c_f32_f16_e32 v70, v91, v84
	v_dot2c_f32_f16_e32 v71, v91, v85
	v_dot2c_f32_f16_e32 v60, v92, v82
	v_dot2c_f32_f16_e32 v61, v92, v83
	v_dot2c_f32_f16_e32 v56, v92, v84
	v_dot2c_f32_f16_e32 v57, v92, v85
	v_dot2c_f32_f16_e32 v54, v93, v82
	v_dot2c_f32_f16_e32 v55, v93, v83
	v_dot2c_f32_f16_e32 v52, v93, v84
	v_dot2c_f32_f16_e32 v53, v93, v85
	s_waitcnt lgkmcnt(0)
	v_dot2c_f32_f16_e32 v18, v86, v94
	v_dot2c_f32_f16_e32 v19, v86, v95
	v_dot2c_f32_f16_e32 v16, v86, v96
	v_dot2c_f32_f16_e32 v17, v86, v97
	v_dot2c_f32_f16_e32 v30, v87, v94
	v_dot2c_f32_f16_e32 v31, v87, v95
	v_dot2c_f32_f16_e32 v26, v87, v96
	v_dot2c_f32_f16_e32 v27, v87, v97
	v_dot2c_f32_f16_e32 v36, v88, v94
	v_dot2c_f32_f16_e32 v37, v88, v95
	v_dot2c_f32_f16_e32 v34, v88, v96
	v_dot2c_f32_f16_e32 v35, v88, v97
	v_dot2c_f32_f16_e32 v50, v89, v94
	v_dot2c_f32_f16_e32 v51, v89, v95
	v_dot2c_f32_f16_e32 v46, v89, v96
	v_dot2c_f32_f16_e32 v47, v89, v97
	ds_read_b128 v[90:93], v8 offset:5632
	ds_read_b128 v[94:97], v4 offset:22016
	v_dot2c_f32_f16_e32 v22, v86, v82
	v_dot2c_f32_f16_e32 v23, v86, v83
	;; [unrolled: 1-line block ×16, first 2 shown]
	ds_read_b128 v[82:85], v4 offset:22272
	ds_read_b128 v[86:89], v8 offset:5888
	s_waitcnt lgkmcnt(2)
	v_dot2c_f32_f16_e32 v76, v90, v94
	v_dot2c_f32_f16_e32 v77, v90, v95
	v_dot2c_f32_f16_e32 v78, v90, v96
	v_dot2c_f32_f16_e32 v79, v90, v97
	v_dot2c_f32_f16_e32 v66, v91, v94
	v_dot2c_f32_f16_e32 v67, v91, v95
	v_dot2c_f32_f16_e32 v64, v91, v96
	v_dot2c_f32_f16_e32 v65, v91, v97
	v_dot2c_f32_f16_e32 v62, v92, v94
	v_dot2c_f32_f16_e32 v63, v92, v95
	v_dot2c_f32_f16_e32 v58, v92, v96
	v_dot2c_f32_f16_e32 v59, v92, v97
	v_dot2c_f32_f16_e32 v44, v93, v94
	v_dot2c_f32_f16_e32 v45, v93, v95
	v_dot2c_f32_f16_e32 v42, v93, v96
	v_dot2c_f32_f16_e32 v43, v93, v97
	s_waitcnt lgkmcnt(1)
	v_dot2c_f32_f16_e32 v74, v90, v82
	v_dot2c_f32_f16_e32 v75, v90, v83
	v_dot2c_f32_f16_e32 v72, v90, v84
	v_dot2c_f32_f16_e32 v73, v90, v85
	v_dot2c_f32_f16_e32 v68, v91, v82
	v_dot2c_f32_f16_e32 v69, v91, v83
	v_dot2c_f32_f16_e32 v70, v91, v84
	v_dot2c_f32_f16_e32 v71, v91, v85
	v_dot2c_f32_f16_e32 v60, v92, v82
	v_dot2c_f32_f16_e32 v61, v92, v83
	v_dot2c_f32_f16_e32 v56, v92, v84
	v_dot2c_f32_f16_e32 v57, v92, v85
	v_dot2c_f32_f16_e32 v54, v93, v82
	v_dot2c_f32_f16_e32 v55, v93, v83
	v_dot2c_f32_f16_e32 v52, v93, v84
	v_dot2c_f32_f16_e32 v53, v93, v85
	;; [unrolled: 17-line block ×3, first 2 shown]
	ds_read_b128 v[90:93], v8 offset:6144
	ds_read_b128 v[94:97], v4 offset:22528
	v_dot2c_f32_f16_e32 v22, v86, v82
	v_dot2c_f32_f16_e32 v23, v86, v83
	;; [unrolled: 1-line block ×16, first 2 shown]
	ds_read_b128 v[82:85], v4 offset:22784
	ds_read_b128 v[86:89], v8 offset:6400
	s_waitcnt lgkmcnt(2)
	v_dot2c_f32_f16_e32 v76, v90, v94
	v_dot2c_f32_f16_e32 v77, v90, v95
	v_dot2c_f32_f16_e32 v78, v90, v96
	v_dot2c_f32_f16_e32 v79, v90, v97
	v_dot2c_f32_f16_e32 v66, v91, v94
	v_dot2c_f32_f16_e32 v67, v91, v95
	v_dot2c_f32_f16_e32 v64, v91, v96
	v_dot2c_f32_f16_e32 v65, v91, v97
	v_dot2c_f32_f16_e32 v62, v92, v94
	v_dot2c_f32_f16_e32 v63, v92, v95
	v_dot2c_f32_f16_e32 v58, v92, v96
	v_dot2c_f32_f16_e32 v59, v92, v97
	v_dot2c_f32_f16_e32 v44, v93, v94
	v_dot2c_f32_f16_e32 v45, v93, v95
	v_dot2c_f32_f16_e32 v42, v93, v96
	v_dot2c_f32_f16_e32 v43, v93, v97
	s_waitcnt lgkmcnt(1)
	v_dot2c_f32_f16_e32 v74, v90, v82
	v_dot2c_f32_f16_e32 v75, v90, v83
	v_dot2c_f32_f16_e32 v72, v90, v84
	v_dot2c_f32_f16_e32 v73, v90, v85
	v_dot2c_f32_f16_e32 v68, v91, v82
	v_dot2c_f32_f16_e32 v69, v91, v83
	v_dot2c_f32_f16_e32 v70, v91, v84
	v_dot2c_f32_f16_e32 v71, v91, v85
	v_dot2c_f32_f16_e32 v60, v92, v82
	v_dot2c_f32_f16_e32 v61, v92, v83
	v_dot2c_f32_f16_e32 v56, v92, v84
	v_dot2c_f32_f16_e32 v57, v92, v85
	v_dot2c_f32_f16_e32 v54, v93, v82
	v_dot2c_f32_f16_e32 v55, v93, v83
	v_dot2c_f32_f16_e32 v52, v93, v84
	v_dot2c_f32_f16_e32 v53, v93, v85
	;; [unrolled: 17-line block ×3, first 2 shown]
	ds_read_b128 v[90:93], v8 offset:6656
	ds_read_b128 v[94:97], v4 offset:23040
	v_dot2c_f32_f16_e32 v22, v86, v82
	v_dot2c_f32_f16_e32 v23, v86, v83
	;; [unrolled: 1-line block ×16, first 2 shown]
	ds_read_b128 v[82:85], v4 offset:23296
	ds_read_b128 v[86:89], v8 offset:6912
	v_or_b32_e32 v14, 16, v1
	v_mul_lo_u32 v110, s37, v14
	s_waitcnt lgkmcnt(2)
	v_dot2c_f32_f16_e32 v76, v90, v94
	v_dot2c_f32_f16_e32 v77, v90, v95
	v_dot2c_f32_f16_e32 v78, v90, v96
	v_dot2c_f32_f16_e32 v79, v90, v97
	v_dot2c_f32_f16_e32 v66, v91, v94
	v_dot2c_f32_f16_e32 v67, v91, v95
	v_dot2c_f32_f16_e32 v64, v91, v96
	v_dot2c_f32_f16_e32 v65, v91, v97
	v_dot2c_f32_f16_e32 v62, v92, v94
	v_dot2c_f32_f16_e32 v63, v92, v95
	v_dot2c_f32_f16_e32 v58, v92, v96
	v_dot2c_f32_f16_e32 v59, v92, v97
	v_dot2c_f32_f16_e32 v44, v93, v94
	v_dot2c_f32_f16_e32 v45, v93, v95
	v_dot2c_f32_f16_e32 v42, v93, v96
	v_dot2c_f32_f16_e32 v43, v93, v97
	s_waitcnt lgkmcnt(1)
	v_dot2c_f32_f16_e32 v74, v90, v82
	v_dot2c_f32_f16_e32 v75, v90, v83
	v_dot2c_f32_f16_e32 v72, v90, v84
	v_dot2c_f32_f16_e32 v73, v90, v85
	v_dot2c_f32_f16_e32 v68, v91, v82
	v_dot2c_f32_f16_e32 v69, v91, v83
	v_dot2c_f32_f16_e32 v70, v91, v84
	v_dot2c_f32_f16_e32 v71, v91, v85
	v_dot2c_f32_f16_e32 v60, v92, v82
	v_dot2c_f32_f16_e32 v61, v92, v83
	v_dot2c_f32_f16_e32 v56, v92, v84
	v_dot2c_f32_f16_e32 v57, v92, v85
	v_dot2c_f32_f16_e32 v54, v93, v82
	v_dot2c_f32_f16_e32 v55, v93, v83
	v_dot2c_f32_f16_e32 v52, v93, v84
	v_dot2c_f32_f16_e32 v53, v93, v85
	;; [unrolled: 17-line block ×3, first 2 shown]
	ds_read_b128 v[90:93], v8 offset:7168
	ds_read_b128 v[94:97], v4 offset:23552
	v_dot2c_f32_f16_e32 v22, v86, v82
	v_dot2c_f32_f16_e32 v23, v86, v83
	;; [unrolled: 1-line block ×16, first 2 shown]
	ds_read_b128 v[82:85], v4 offset:23808
	ds_read_b128 v[86:89], v8 offset:7424
	v_mul_hi_u32 v14, v110, s14
	v_add_u32_e32 v14, v110, v14
	v_lshrrev_b32_e32 v15, s62, v14
	v_mul_hi_u32 v14, v15, s13
	v_add_u32_e32 v14, v15, v14
	s_waitcnt lgkmcnt(1)
	v_dot2c_f32_f16_e32 v74, v90, v82
	v_dot2c_f32_f16_e32 v68, v91, v82
	v_dot2c_f32_f16_e32 v60, v92, v82
	v_dot2c_f32_f16_e32 v54, v93, v82
	s_waitcnt lgkmcnt(0)
	v_dot2c_f32_f16_e32 v22, v86, v82
	v_dot2c_f32_f16_e32 v28, v87, v82
	;; [unrolled: 1-line block ×4, first 2 shown]
	v_lshrrev_b32_e32 v82, s61, v14
	v_mul_hi_u32 v14, v82, s12
	v_or_b32_e32 v1, 20, v1
	v_add_u32_e32 v14, v82, v14
	v_mul_lo_u32 v1, s37, v1
	v_dot2c_f32_f16_e32 v75, v90, v83
	v_dot2c_f32_f16_e32 v69, v91, v83
	;; [unrolled: 1-line block ×8, first 2 shown]
	v_lshrrev_b32_e32 v83, s60, v14
	v_mul_hi_u32 v14, v1, s14
	v_add_u32_e32 v14, v1, v14
	v_dot2c_f32_f16_e32 v18, v86, v94
	v_dot2c_f32_f16_e32 v19, v86, v95
	v_dot2c_f32_f16_e32 v16, v86, v96
	v_dot2c_f32_f16_e32 v17, v86, v97
	v_dot2c_f32_f16_e32 v20, v86, v84
	v_dot2c_f32_f16_e32 v21, v86, v85
	v_lshrrev_b32_e32 v86, s62, v14
	v_mul_hi_u32 v14, v86, s13
	v_add_u32_e32 v14, v86, v14
	v_dot2c_f32_f16_e32 v30, v87, v94
	v_dot2c_f32_f16_e32 v31, v87, v95
	v_dot2c_f32_f16_e32 v26, v87, v96
	v_dot2c_f32_f16_e32 v27, v87, v97
	v_dot2c_f32_f16_e32 v24, v87, v84
	v_dot2c_f32_f16_e32 v25, v87, v85
	;; [unrolled: 9-line block ×3, first 2 shown]
	v_lshrrev_b32_e32 v88, s60, v14
	v_mul_lo_u32 v14, v83, s8
	v_sub_u32_e32 v14, v82, v14
	v_mul_lo_u32 v82, v82, s9
	v_sub_u32_e32 v82, v15, v82
	v_mul_lo_u32 v15, v15, s10
	v_dot2c_f32_f16_e32 v72, v90, v84
	v_dot2c_f32_f16_e32 v70, v91, v84
	;; [unrolled: 1-line block ×5, first 2 shown]
	v_sub_u32_e32 v84, v110, v15
	v_sub_u32_e32 v10, v82, v10
	v_sub_u32_e32 v11, v83, v11
	v_sub_u32_e32 v9, v84, v9
	v_sub_u32_e32 v12, v14, v12
	v_mul_lo_u32 v111, v10, s34
	v_mul_lo_u32 v112, v11, s80
	v_mul_lo_u32 v9, v9, s82
	v_mul_lo_u32 v10, v112, s53
	v_mul_lo_u32 v11, v111, s55
	v_mul_lo_u32 v113, v12, s56
	v_add3_u32 v9, v11, v9, v10
	v_mul_lo_u32 v10, v113, s54
	v_add3_u32 v9, v9, v10, v13
	v_mad_u64_u32 v[14:15], s[4:5], v88, s8, v[14:15]
	v_lshlrev_b32_e32 v10, 1, v9
	v_sub_u32_e32 v98, v87, v14
	v_mad_u64_u32 v[14:15], s[4:5], v87, s9, v[82:83]
	buffer_load_dwordx4 v[10:13], v10, s[28:31], 0 offen
	v_sub_u32_e32 v82, v86, v14
	v_mad_u64_u32 v[14:15], s[4:5], v86, s10, v[84:85]
	v_sub_u32_e32 v14, v1, v14
	v_sub_u32_e32 v15, v88, v83
	v_mul_lo_u32 v114, v82, s34
	v_mul_lo_u32 v14, v14, s82
	;; [unrolled: 1-line block ×4, first 2 shown]
	v_mad_u64_u32 v[14:15], s[4:5], v114, s55, v[14:15]
	v_mul_lo_u32 v15, v116, s53
	v_mul_lo_u32 v82, v115, s54
	v_add3_u32 v14, v14, v15, v82
	v_add_lshl_u32 v9, v14, v9, 1
	s_mul_i32 s36, s36, 12
	buffer_load_dwordx4 v[98:101], v9, s[28:31], 0 offen
	v_add_u32_e32 v3, s36, v3
	v_lshlrev_b32_e32 v9, 1, v3
	v_dot2c_f32_f16_e32 v76, v90, v94
	v_dot2c_f32_f16_e32 v77, v90, v95
	;; [unrolled: 1-line block ×24, first 2 shown]
	ds_read_b128 v[90:93], v8 offset:7680
	ds_read_b128 v[94:97], v4 offset:24064
	v_dot2c_f32_f16_e32 v33, v89, v85
	ds_read_b128 v[82:85], v4 offset:24320
	ds_read_b128 v[86:89], v8 offset:7936
	buffer_load_dwordx4 v[102:105], v9, s[48:51], 0 offen
	v_add_lshl_u32 v3, v3, s17, 1
	buffer_load_dwordx4 v[106:109], v3, s[48:51], 0 offen
	v_add_u32_e32 v3, v5, v111
	v_cmp_gt_i32_e64 s[4:5], s11, v110
	v_cmp_gt_i32_e64 s[8:9], s18, v3
	v_add_u32_e32 v5, v6, v113
	v_cmp_le_i32_e64 s[6:7], s67, v3
	s_and_b64 s[4:5], s[8:9], s[4:5]
	s_and_b64 s[8:9], s[4:5], s[6:7]
	v_cmp_le_i32_e64 s[4:5], s65, v5
	v_cmp_gt_i32_e64 s[6:7], s21, v5
	v_add_u32_e32 v6, v7, v112
	s_and_b64 s[4:5], s[4:5], s[6:7]
	s_and_b64 s[8:9], s[8:9], s[4:5]
	v_cmp_le_i32_e64 s[4:5], s33, v6
	v_cmp_gt_i32_e64 s[6:7], s20, v6
	s_and_b64 s[4:5], s[4:5], s[6:7]
	s_and_b64 s[4:5], s[8:9], s[4:5]
	s_and_b64 s[4:5], vcc, s[4:5]
	v_add_u32_e32 v3, v3, v114
	v_add_u32_e32 v5, v5, v115
	v_cmp_gt_i32_e64 s[8:9], s18, v3
	v_cmp_le_i32_e64 s[6:7], s67, v3
	v_cmp_gt_i32_e64 s[12:13], s21, v5
	v_add_u32_e32 v6, v6, v116
	v_add_u32_e32 v2, s36, v2
	s_waitcnt lgkmcnt(2)
	v_dot2c_f32_f16_e32 v76, v90, v94
	v_dot2c_f32_f16_e32 v77, v90, v95
	;; [unrolled: 1-line block ×5, first 2 shown]
	s_waitcnt vmcnt(3)
	v_cndmask_b32_e64 v7, 0, v13, s[4:5]
	v_cndmask_b32_e64 v9, 0, v12, s[4:5]
	;; [unrolled: 1-line block ×4, first 2 shown]
	v_cmp_gt_i32_e64 s[4:5], s11, v1
	v_cmp_le_i32_e64 s[10:11], s65, v5
	s_and_b64 s[4:5], s[8:9], s[4:5]
	s_and_b64 s[4:5], s[4:5], s[6:7]
	;; [unrolled: 1-line block ×4, first 2 shown]
	v_cmp_le_i32_e64 s[4:5], s33, v6
	v_cmp_gt_i32_e64 s[6:7], s20, v6
	s_and_b64 s[4:5], s[4:5], s[6:7]
	s_and_b64 s[4:5], s[8:9], s[4:5]
	s_and_b64 vcc, vcc, s[4:5]
	v_dot2c_f32_f16_e32 v67, v91, v95
	v_dot2c_f32_f16_e32 v64, v91, v96
	s_waitcnt vmcnt(2)
	v_cndmask_b32_e32 v1, 0, v101, vcc
	v_cndmask_b32_e32 v3, 0, v100, vcc
	;; [unrolled: 1-line block ×4, first 2 shown]
	v_cmp_gt_i32_e32 vcc, s25, v2
	s_and_b64 vcc, vcc, s[2:3]
	v_add_u32_e32 v2, s17, v2
	v_dot2c_f32_f16_e32 v65, v91, v97
	v_dot2c_f32_f16_e32 v62, v92, v94
	;; [unrolled: 1-line block ×5, first 2 shown]
	s_waitcnt lgkmcnt(1)
	v_dot2c_f32_f16_e32 v74, v90, v82
	v_dot2c_f32_f16_e32 v75, v90, v83
	;; [unrolled: 1-line block ×16, first 2 shown]
	s_waitcnt lgkmcnt(0)
	v_dot2c_f32_f16_e32 v18, v86, v94
	v_dot2c_f32_f16_e32 v19, v86, v95
	;; [unrolled: 1-line block ×3, first 2 shown]
	s_waitcnt vmcnt(1)
	v_cndmask_b32_e32 v12, 0, v105, vcc
	v_cndmask_b32_e32 v13, 0, v104, vcc
	;; [unrolled: 1-line block ×4, first 2 shown]
	v_cmp_gt_i32_e32 vcc, s25, v2
	s_and_b64 vcc, vcc, s[2:3]
	v_dot2c_f32_f16_e32 v17, v86, v97
	s_waitcnt vmcnt(0)
	v_cndmask_b32_e32 v2, 0, v109, vcc
	v_dot2c_f32_f16_e32 v30, v87, v94
	v_dot2c_f32_f16_e32 v31, v87, v95
	v_dot2c_f32_f16_e32 v26, v87, v96
	v_dot2c_f32_f16_e32 v27, v87, v97
	v_dot2c_f32_f16_e32 v36, v88, v94
	v_dot2c_f32_f16_e32 v37, v88, v95
	v_dot2c_f32_f16_e32 v34, v88, v96
	v_dot2c_f32_f16_e32 v35, v88, v97
	v_dot2c_f32_f16_e32 v50, v89, v94
	v_dot2c_f32_f16_e32 v51, v89, v95
	v_dot2c_f32_f16_e32 v46, v89, v96
	v_dot2c_f32_f16_e32 v47, v89, v97
	v_cndmask_b32_e32 v90, 0, v108, vcc
	v_cndmask_b32_e32 v91, 0, v107, vcc
	v_cndmask_b32_e32 v92, 0, v106, vcc
	ds_write2st64_b32 v0, v10, v11 offset0:32 offset1:34
	v_dot2c_f32_f16_e32 v22, v86, v82
	v_dot2c_f32_f16_e32 v23, v86, v83
	;; [unrolled: 1-line block ×14, first 2 shown]
	ds_write2st64_b32 v0, v9, v7 offset0:36 offset1:38
	ds_write2st64_b32 v0, v6, v5 offset0:40 offset1:42
	;; [unrolled: 1-line block ×7, first 2 shown]
	s_waitcnt lgkmcnt(0)
	s_barrier
	ds_read_b128 v[0:3], v8 offset:8192
	ds_read_b128 v[10:13], v4 offset:24576
	v_dot2c_f32_f16_e32 v32, v89, v84
	v_dot2c_f32_f16_e32 v33, v89, v85
	ds_read_b128 v[82:85], v4 offset:24832
	ds_read_b128 v[86:89], v8 offset:8448
	v_dot2c_f32_f16_e32 v44, v93, v94
	v_dot2c_f32_f16_e32 v45, v93, v95
	;; [unrolled: 1-line block ×4, first 2 shown]
	s_waitcnt lgkmcnt(2)
	v_dot2c_f32_f16_e32 v76, v0, v10
	v_dot2c_f32_f16_e32 v77, v0, v11
	;; [unrolled: 1-line block ×16, first 2 shown]
	s_waitcnt lgkmcnt(1)
	v_dot2c_f32_f16_e32 v74, v0, v82
	v_dot2c_f32_f16_e32 v75, v0, v83
	v_dot2c_f32_f16_e32 v72, v0, v84
	v_dot2c_f32_f16_e32 v73, v0, v85
	v_dot2c_f32_f16_e32 v68, v1, v82
	v_dot2c_f32_f16_e32 v69, v1, v83
	v_dot2c_f32_f16_e32 v70, v1, v84
	v_dot2c_f32_f16_e32 v71, v1, v85
	v_dot2c_f32_f16_e32 v60, v2, v82
	v_dot2c_f32_f16_e32 v61, v2, v83
	v_dot2c_f32_f16_e32 v56, v2, v84
	v_dot2c_f32_f16_e32 v57, v2, v85
	v_dot2c_f32_f16_e32 v54, v3, v82
	v_dot2c_f32_f16_e32 v55, v3, v83
	v_dot2c_f32_f16_e32 v52, v3, v84
	v_dot2c_f32_f16_e32 v53, v3, v85
	ds_read_b128 v[0:3], v8 offset:8704
	s_waitcnt lgkmcnt(1)
	v_dot2c_f32_f16_e32 v18, v86, v10
	v_dot2c_f32_f16_e32 v19, v86, v11
	;; [unrolled: 1-line block ×16, first 2 shown]
	ds_read_b128 v[10:13], v4 offset:25088
	v_dot2c_f32_f16_e32 v22, v86, v82
	v_dot2c_f32_f16_e32 v23, v86, v83
	;; [unrolled: 1-line block ×16, first 2 shown]
	ds_read_b128 v[82:85], v4 offset:25344
	ds_read_b128 v[86:89], v8 offset:8960
	s_waitcnt lgkmcnt(2)
	v_dot2c_f32_f16_e32 v76, v0, v10
	v_dot2c_f32_f16_e32 v77, v0, v11
	;; [unrolled: 1-line block ×16, first 2 shown]
	s_waitcnt lgkmcnt(1)
	v_dot2c_f32_f16_e32 v74, v0, v82
	v_dot2c_f32_f16_e32 v75, v0, v83
	;; [unrolled: 1-line block ×16, first 2 shown]
	ds_read_b128 v[0:3], v8 offset:9216
	s_waitcnt lgkmcnt(1)
	v_dot2c_f32_f16_e32 v18, v86, v10
	v_dot2c_f32_f16_e32 v19, v86, v11
	;; [unrolled: 1-line block ×16, first 2 shown]
	ds_read_b128 v[10:13], v4 offset:25600
	v_dot2c_f32_f16_e32 v22, v86, v82
	v_dot2c_f32_f16_e32 v23, v86, v83
	;; [unrolled: 1-line block ×16, first 2 shown]
	ds_read_b128 v[82:85], v4 offset:25856
	ds_read_b128 v[86:89], v8 offset:9472
	s_waitcnt lgkmcnt(2)
	v_dot2c_f32_f16_e32 v76, v0, v10
	v_dot2c_f32_f16_e32 v77, v0, v11
	;; [unrolled: 1-line block ×16, first 2 shown]
	s_waitcnt lgkmcnt(1)
	v_dot2c_f32_f16_e32 v74, v0, v82
	v_dot2c_f32_f16_e32 v75, v0, v83
	;; [unrolled: 1-line block ×16, first 2 shown]
	ds_read_b128 v[0:3], v8 offset:9728
	s_waitcnt lgkmcnt(1)
	v_dot2c_f32_f16_e32 v18, v86, v10
	v_dot2c_f32_f16_e32 v19, v86, v11
	;; [unrolled: 1-line block ×16, first 2 shown]
	ds_read_b128 v[10:13], v4 offset:26112
	v_dot2c_f32_f16_e32 v22, v86, v82
	v_dot2c_f32_f16_e32 v23, v86, v83
	;; [unrolled: 1-line block ×16, first 2 shown]
	ds_read_b128 v[82:85], v4 offset:26368
	ds_read_b128 v[86:89], v8 offset:9984
	s_waitcnt lgkmcnt(2)
	v_dot2c_f32_f16_e32 v76, v0, v10
	v_dot2c_f32_f16_e32 v77, v0, v11
	;; [unrolled: 1-line block ×16, first 2 shown]
	s_waitcnt lgkmcnt(1)
	v_dot2c_f32_f16_e32 v74, v0, v82
	v_dot2c_f32_f16_e32 v75, v0, v83
	;; [unrolled: 1-line block ×16, first 2 shown]
	ds_read_b128 v[0:3], v8 offset:10240
	s_waitcnt lgkmcnt(1)
	v_dot2c_f32_f16_e32 v18, v86, v10
	v_dot2c_f32_f16_e32 v19, v86, v11
	;; [unrolled: 1-line block ×16, first 2 shown]
	ds_read_b128 v[10:13], v4 offset:26624
	v_dot2c_f32_f16_e32 v22, v86, v82
	v_dot2c_f32_f16_e32 v23, v86, v83
	;; [unrolled: 1-line block ×16, first 2 shown]
	ds_read_b128 v[82:85], v4 offset:26880
	ds_read_b128 v[86:89], v8 offset:10496
	s_waitcnt lgkmcnt(2)
	v_dot2c_f32_f16_e32 v76, v0, v10
	v_dot2c_f32_f16_e32 v77, v0, v11
	v_dot2c_f32_f16_e32 v78, v0, v12
	v_dot2c_f32_f16_e32 v79, v0, v13
	v_dot2c_f32_f16_e32 v66, v1, v10
	v_dot2c_f32_f16_e32 v67, v1, v11
	v_dot2c_f32_f16_e32 v64, v1, v12
	v_dot2c_f32_f16_e32 v65, v1, v13
	v_dot2c_f32_f16_e32 v62, v2, v10
	v_dot2c_f32_f16_e32 v63, v2, v11
	v_dot2c_f32_f16_e32 v58, v2, v12
	v_dot2c_f32_f16_e32 v59, v2, v13
	v_dot2c_f32_f16_e32 v44, v3, v10
	v_dot2c_f32_f16_e32 v45, v3, v11
	v_dot2c_f32_f16_e32 v42, v3, v12
	v_dot2c_f32_f16_e32 v43, v3, v13
	s_waitcnt lgkmcnt(1)
	v_dot2c_f32_f16_e32 v74, v0, v82
	v_dot2c_f32_f16_e32 v75, v0, v83
	;; [unrolled: 1-line block ×16, first 2 shown]
	ds_read_b128 v[0:3], v8 offset:10752
	s_waitcnt lgkmcnt(1)
	v_dot2c_f32_f16_e32 v18, v86, v10
	v_dot2c_f32_f16_e32 v19, v86, v11
	;; [unrolled: 1-line block ×16, first 2 shown]
	ds_read_b128 v[10:13], v4 offset:27136
	v_dot2c_f32_f16_e32 v22, v86, v82
	v_dot2c_f32_f16_e32 v23, v86, v83
	;; [unrolled: 1-line block ×16, first 2 shown]
	ds_read_b128 v[82:85], v4 offset:27392
	ds_read_b128 v[86:89], v8 offset:11008
	s_waitcnt lgkmcnt(2)
	v_dot2c_f32_f16_e32 v76, v0, v10
	v_dot2c_f32_f16_e32 v77, v0, v11
	;; [unrolled: 1-line block ×16, first 2 shown]
	s_waitcnt lgkmcnt(1)
	v_dot2c_f32_f16_e32 v74, v0, v82
	v_dot2c_f32_f16_e32 v75, v0, v83
	;; [unrolled: 1-line block ×16, first 2 shown]
	ds_read_b128 v[0:3], v8 offset:11264
	s_waitcnt lgkmcnt(1)
	v_dot2c_f32_f16_e32 v18, v86, v10
	v_dot2c_f32_f16_e32 v19, v86, v11
	;; [unrolled: 1-line block ×16, first 2 shown]
	ds_read_b128 v[10:13], v4 offset:27648
	v_dot2c_f32_f16_e32 v22, v86, v82
	v_dot2c_f32_f16_e32 v23, v86, v83
	;; [unrolled: 1-line block ×16, first 2 shown]
	ds_read_b128 v[82:85], v4 offset:27904
	ds_read_b128 v[86:89], v8 offset:11520
	s_waitcnt lgkmcnt(2)
	v_dot2c_f32_f16_e32 v76, v0, v10
	v_dot2c_f32_f16_e32 v77, v0, v11
	;; [unrolled: 1-line block ×16, first 2 shown]
	s_waitcnt lgkmcnt(1)
	v_dot2c_f32_f16_e32 v74, v0, v82
	v_dot2c_f32_f16_e32 v75, v0, v83
	v_dot2c_f32_f16_e32 v72, v0, v84
	v_dot2c_f32_f16_e32 v73, v0, v85
	v_dot2c_f32_f16_e32 v68, v1, v82
	v_dot2c_f32_f16_e32 v69, v1, v83
	v_dot2c_f32_f16_e32 v70, v1, v84
	v_dot2c_f32_f16_e32 v71, v1, v85
	v_dot2c_f32_f16_e32 v60, v2, v82
	v_dot2c_f32_f16_e32 v61, v2, v83
	v_dot2c_f32_f16_e32 v56, v2, v84
	v_dot2c_f32_f16_e32 v57, v2, v85
	v_dot2c_f32_f16_e32 v54, v3, v82
	v_dot2c_f32_f16_e32 v55, v3, v83
	v_dot2c_f32_f16_e32 v52, v3, v84
	v_dot2c_f32_f16_e32 v53, v3, v85
	ds_read_b128 v[0:3], v8 offset:11776
	s_waitcnt lgkmcnt(1)
	v_dot2c_f32_f16_e32 v18, v86, v10
	v_dot2c_f32_f16_e32 v19, v86, v11
	;; [unrolled: 1-line block ×16, first 2 shown]
	ds_read_b128 v[10:13], v4 offset:28160
	v_dot2c_f32_f16_e32 v22, v86, v82
	v_dot2c_f32_f16_e32 v23, v86, v83
	;; [unrolled: 1-line block ×16, first 2 shown]
	ds_read_b128 v[82:85], v4 offset:28416
	ds_read_b128 v[86:89], v8 offset:12032
	s_waitcnt lgkmcnt(2)
	v_dot2c_f32_f16_e32 v76, v0, v10
	v_dot2c_f32_f16_e32 v77, v0, v11
	;; [unrolled: 1-line block ×16, first 2 shown]
	s_waitcnt lgkmcnt(1)
	v_dot2c_f32_f16_e32 v74, v0, v82
	v_dot2c_f32_f16_e32 v75, v0, v83
	;; [unrolled: 1-line block ×16, first 2 shown]
	ds_read_b128 v[0:3], v8 offset:12288
	s_waitcnt lgkmcnt(1)
	v_dot2c_f32_f16_e32 v18, v86, v10
	v_dot2c_f32_f16_e32 v19, v86, v11
	;; [unrolled: 1-line block ×16, first 2 shown]
	ds_read_b128 v[10:13], v4 offset:28672
	v_dot2c_f32_f16_e32 v22, v86, v82
	v_dot2c_f32_f16_e32 v23, v86, v83
	;; [unrolled: 1-line block ×16, first 2 shown]
	ds_read_b128 v[82:85], v4 offset:28928
	ds_read_b128 v[86:89], v8 offset:12544
	s_waitcnt lgkmcnt(2)
	v_dot2c_f32_f16_e32 v76, v0, v10
	v_dot2c_f32_f16_e32 v77, v0, v11
	;; [unrolled: 1-line block ×16, first 2 shown]
	s_waitcnt lgkmcnt(1)
	v_dot2c_f32_f16_e32 v74, v0, v82
	v_dot2c_f32_f16_e32 v75, v0, v83
	;; [unrolled: 1-line block ×16, first 2 shown]
	ds_read_b128 v[0:3], v8 offset:12800
	s_waitcnt lgkmcnt(1)
	v_dot2c_f32_f16_e32 v18, v86, v10
	v_dot2c_f32_f16_e32 v19, v86, v11
	;; [unrolled: 1-line block ×16, first 2 shown]
	ds_read_b128 v[10:13], v4 offset:29184
	v_dot2c_f32_f16_e32 v22, v86, v82
	v_dot2c_f32_f16_e32 v23, v86, v83
	;; [unrolled: 1-line block ×16, first 2 shown]
	ds_read_b128 v[82:85], v4 offset:29440
	ds_read_b128 v[86:89], v8 offset:13056
	s_waitcnt lgkmcnt(2)
	v_dot2c_f32_f16_e32 v76, v0, v10
	v_dot2c_f32_f16_e32 v77, v0, v11
	;; [unrolled: 1-line block ×16, first 2 shown]
	s_waitcnt lgkmcnt(1)
	v_dot2c_f32_f16_e32 v74, v0, v82
	v_dot2c_f32_f16_e32 v75, v0, v83
	v_dot2c_f32_f16_e32 v72, v0, v84
	v_dot2c_f32_f16_e32 v73, v0, v85
	v_dot2c_f32_f16_e32 v68, v1, v82
	v_dot2c_f32_f16_e32 v69, v1, v83
	v_dot2c_f32_f16_e32 v70, v1, v84
	v_dot2c_f32_f16_e32 v71, v1, v85
	v_dot2c_f32_f16_e32 v60, v2, v82
	v_dot2c_f32_f16_e32 v61, v2, v83
	v_dot2c_f32_f16_e32 v56, v2, v84
	v_dot2c_f32_f16_e32 v57, v2, v85
	v_dot2c_f32_f16_e32 v54, v3, v82
	v_dot2c_f32_f16_e32 v55, v3, v83
	v_dot2c_f32_f16_e32 v52, v3, v84
	v_dot2c_f32_f16_e32 v53, v3, v85
	ds_read_b128 v[0:3], v8 offset:13312
	s_waitcnt lgkmcnt(1)
	v_dot2c_f32_f16_e32 v18, v86, v10
	v_dot2c_f32_f16_e32 v19, v86, v11
	;; [unrolled: 1-line block ×16, first 2 shown]
	ds_read_b128 v[10:13], v4 offset:29696
	v_dot2c_f32_f16_e32 v22, v86, v82
	v_dot2c_f32_f16_e32 v23, v86, v83
	;; [unrolled: 1-line block ×16, first 2 shown]
	ds_read_b128 v[82:85], v4 offset:29952
	ds_read_b128 v[86:89], v8 offset:13568
	s_waitcnt lgkmcnt(2)
	v_dot2c_f32_f16_e32 v76, v0, v10
	v_dot2c_f32_f16_e32 v77, v0, v11
	v_dot2c_f32_f16_e32 v78, v0, v12
	v_dot2c_f32_f16_e32 v79, v0, v13
	v_dot2c_f32_f16_e32 v66, v1, v10
	v_dot2c_f32_f16_e32 v67, v1, v11
	v_dot2c_f32_f16_e32 v64, v1, v12
	v_dot2c_f32_f16_e32 v65, v1, v13
	v_dot2c_f32_f16_e32 v62, v2, v10
	v_dot2c_f32_f16_e32 v63, v2, v11
	v_dot2c_f32_f16_e32 v58, v2, v12
	v_dot2c_f32_f16_e32 v59, v2, v13
	v_dot2c_f32_f16_e32 v44, v3, v10
	v_dot2c_f32_f16_e32 v45, v3, v11
	v_dot2c_f32_f16_e32 v42, v3, v12
	v_dot2c_f32_f16_e32 v43, v3, v13
	s_waitcnt lgkmcnt(1)
	v_dot2c_f32_f16_e32 v74, v0, v82
	v_dot2c_f32_f16_e32 v75, v0, v83
	;; [unrolled: 1-line block ×16, first 2 shown]
	ds_read_b128 v[0:3], v8 offset:13824
	s_waitcnt lgkmcnt(1)
	v_dot2c_f32_f16_e32 v18, v86, v10
	v_dot2c_f32_f16_e32 v19, v86, v11
	;; [unrolled: 1-line block ×16, first 2 shown]
	ds_read_b128 v[10:13], v4 offset:30208
	v_dot2c_f32_f16_e32 v22, v86, v82
	v_dot2c_f32_f16_e32 v23, v86, v83
	;; [unrolled: 1-line block ×16, first 2 shown]
	ds_read_b128 v[82:85], v4 offset:30464
	ds_read_b128 v[86:89], v8 offset:14080
	s_waitcnt lgkmcnt(2)
	v_dot2c_f32_f16_e32 v76, v0, v10
	v_dot2c_f32_f16_e32 v77, v0, v11
	;; [unrolled: 1-line block ×16, first 2 shown]
	s_waitcnt lgkmcnt(1)
	v_dot2c_f32_f16_e32 v74, v0, v82
	v_dot2c_f32_f16_e32 v75, v0, v83
	;; [unrolled: 1-line block ×16, first 2 shown]
	ds_read_b128 v[0:3], v8 offset:14336
	s_waitcnt lgkmcnt(1)
	v_dot2c_f32_f16_e32 v18, v86, v10
	v_dot2c_f32_f16_e32 v19, v86, v11
	;; [unrolled: 1-line block ×16, first 2 shown]
	ds_read_b128 v[10:13], v4 offset:30720
	v_dot2c_f32_f16_e32 v22, v86, v82
	v_dot2c_f32_f16_e32 v23, v86, v83
	;; [unrolled: 1-line block ×16, first 2 shown]
	ds_read_b128 v[82:85], v4 offset:30976
	ds_read_b128 v[86:89], v8 offset:14592
	s_waitcnt lgkmcnt(2)
	v_dot2c_f32_f16_e32 v76, v0, v10
	v_dot2c_f32_f16_e32 v77, v0, v11
	;; [unrolled: 1-line block ×16, first 2 shown]
	s_waitcnt lgkmcnt(1)
	v_dot2c_f32_f16_e32 v74, v0, v82
	v_dot2c_f32_f16_e32 v75, v0, v83
	;; [unrolled: 1-line block ×16, first 2 shown]
	ds_read_b128 v[0:3], v8 offset:14848
	s_waitcnt lgkmcnt(1)
	v_dot2c_f32_f16_e32 v18, v86, v10
	v_dot2c_f32_f16_e32 v19, v86, v11
	;; [unrolled: 1-line block ×16, first 2 shown]
	ds_read_b128 v[10:13], v4 offset:31232
	v_dot2c_f32_f16_e32 v22, v86, v82
	v_dot2c_f32_f16_e32 v23, v86, v83
	;; [unrolled: 1-line block ×16, first 2 shown]
	ds_read_b128 v[82:85], v4 offset:31488
	ds_read_b128 v[86:89], v8 offset:15104
	s_waitcnt lgkmcnt(2)
	v_dot2c_f32_f16_e32 v76, v0, v10
	v_dot2c_f32_f16_e32 v77, v0, v11
	;; [unrolled: 1-line block ×16, first 2 shown]
	s_waitcnt lgkmcnt(1)
	v_dot2c_f32_f16_e32 v74, v0, v82
	v_dot2c_f32_f16_e32 v75, v0, v83
	;; [unrolled: 1-line block ×16, first 2 shown]
	ds_read_b128 v[0:3], v8 offset:15360
	s_waitcnt lgkmcnt(1)
	v_dot2c_f32_f16_e32 v18, v86, v10
	v_dot2c_f32_f16_e32 v19, v86, v11
	;; [unrolled: 1-line block ×16, first 2 shown]
	ds_read_b128 v[10:13], v4 offset:31744
	v_dot2c_f32_f16_e32 v22, v86, v82
	v_dot2c_f32_f16_e32 v23, v86, v83
	;; [unrolled: 1-line block ×16, first 2 shown]
	ds_read_b128 v[82:85], v4 offset:32000
	ds_read_b128 v[86:89], v8 offset:15616
	v_or_b32_e32 v94, s39, v81
	s_waitcnt lgkmcnt(2)
	v_dot2c_f32_f16_e32 v76, v0, v10
	v_dot2c_f32_f16_e32 v77, v0, v11
	;; [unrolled: 1-line block ×16, first 2 shown]
	s_waitcnt lgkmcnt(1)
	v_dot2c_f32_f16_e32 v74, v0, v82
	v_dot2c_f32_f16_e32 v75, v0, v83
	;; [unrolled: 1-line block ×16, first 2 shown]
	ds_read_b128 v[0:3], v8 offset:15872
	s_waitcnt lgkmcnt(1)
	v_dot2c_f32_f16_e32 v16, v86, v12
	v_dot2c_f32_f16_e32 v17, v86, v13
	;; [unrolled: 1-line block ×8, first 2 shown]
	ds_read_b128 v[12:15], v4 offset:32256
	v_add_u32_e32 v95, s16, v80
	v_mul_lo_u32 v80, v94, s26
	v_dot2c_f32_f16_e32 v18, v86, v10
	v_dot2c_f32_f16_e32 v19, v86, v11
	;; [unrolled: 1-line block ×8, first 2 shown]
	ds_read_b128 v[4:7], v4 offset:32512
	ds_read_b128 v[8:11], v8 offset:16128
	v_mad_u64_u32 v[80:81], s[2:3], v95, s27, v[80:81]
	s_load_dword s2, s[0:1], 0x210
	s_load_dwordx2 s[10:11], s[0:1], 0x220
	s_load_dword s12, s[0:1], 0x22c
	s_load_dword s13, s[0:1], 0x238
	s_load_dword s4, s[0:1], 0x1e8
	s_waitcnt lgkmcnt(0)
	s_lshl_b32 s46, s2, 1
	s_and_b32 s45, s23, 0xffff
	s_mov_b32 s47, s31
	v_lshlrev_b32_e32 v81, 1, v80
	buffer_load_dwordx2 v[92:93], v81, s[44:47], 0 offen
	v_dot2c_f32_f16_e32 v76, v0, v12
	v_dot2c_f32_f16_e32 v77, v0, v13
	;; [unrolled: 1-line block ×4, first 2 shown]
	s_lshl_b32 s6, s27, 6
	v_dot2c_f32_f16_e32 v74, v0, v4
	v_dot2c_f32_f16_e32 v75, v0, v5
	;; [unrolled: 1-line block ×4, first 2 shown]
	v_add_u32_e32 v0, s26, v80
	v_dot2c_f32_f16_e32 v22, v86, v82
	v_dot2c_f32_f16_e32 v23, v86, v83
	;; [unrolled: 1-line block ×4, first 2 shown]
	v_add_lshl_u32 v81, v80, s6, 1
	v_add_u32_e32 v86, s26, v0
	buffer_load_dwordx2 v[90:91], v81, s[44:47], 0 offen
	v_add_u32_e32 v96, s26, v86
	v_dot2c_f32_f16_e32 v28, v87, v82
	v_dot2c_f32_f16_e32 v24, v87, v84
	;; [unrolled: 1-line block ×6, first 2 shown]
	v_lshlrev_b32_e32 v80, 1, v0
	v_add_lshl_u32 v82, v0, s6, 1
	v_lshlrev_b32_e32 v0, 1, v86
	v_add_lshl_u32 v84, v86, s6, 1
	v_lshlrev_b32_e32 v86, 1, v96
	v_dot2c_f32_f16_e32 v29, v87, v83
	v_dot2c_f32_f16_e32 v25, v87, v85
	;; [unrolled: 1-line block ×4, first 2 shown]
	buffer_load_dwordx2 v[82:83], v82, s[44:47], 0 offen
	v_dot2c_f32_f16_e32 v66, v1, v12
	buffer_load_dwordx2 v[86:87], v86, s[44:47], 0 offen
	v_dot2c_f32_f16_e32 v67, v1, v13
	;; [unrolled: 2-line block ×3, first 2 shown]
	v_dot2c_f32_f16_e32 v65, v1, v15
	v_dot2c_f32_f16_e32 v68, v1, v4
	;; [unrolled: 1-line block ×5, first 2 shown]
	buffer_load_dwordx2 v[0:1], v0, s[44:47], 0 offen
	v_dot2c_f32_f16_e32 v39, v88, v85
	v_dot2c_f32_f16_e32 v33, v89, v85
	buffer_load_dwordx2 v[84:85], v84, s[44:47], 0 offen
	v_dot2c_f32_f16_e32 v62, v2, v12
	v_dot2c_f32_f16_e32 v63, v2, v13
	;; [unrolled: 1-line block ×8, first 2 shown]
	v_add_lshl_u32 v2, v96, s6, 1
	buffer_load_dwordx2 v[88:89], v2, s[44:47], 0 offen
	s_load_dword s38, s[0:1], 0x260
	v_dot2c_f32_f16_e32 v52, v3, v6
	v_dot2c_f32_f16_e32 v53, v3, v7
	v_dot2c_f32_f16_e32 v20, v8, v6
	v_dot2c_f32_f16_e32 v21, v8, v7
	v_dot2c_f32_f16_e32 v24, v9, v6
	v_dot2c_f32_f16_e32 v25, v9, v7
	v_dot2c_f32_f16_e32 v38, v10, v6
	v_dot2c_f32_f16_e32 v39, v10, v7
	v_dot2c_f32_f16_e32 v32, v11, v6
	v_dot2c_f32_f16_e32 v33, v11, v7
	v_cmp_gt_i32_e64 s[2:3], s4, v95
	v_cmp_gt_i32_e32 vcc, s15, v94
	v_mad_u64_u32 v[6:7], s[0:1], s26, 61, v[96:97]
	v_dot2c_f32_f16_e32 v44, v3, v12
	v_dot2c_f32_f16_e32 v54, v3, v4
	;; [unrolled: 1-line block ×10, first 2 shown]
	s_and_b64 s[0:1], vcc, s[2:3]
	v_add_lshl_u32 v4, v6, s6, 1
	v_add_u32_e32 v12, s26, v6
	v_dot2c_f32_f16_e32 v55, v3, v5
	v_dot2c_f32_f16_e32 v19, v8, v13
	;; [unrolled: 1-line block ×11, first 2 shown]
	s_waitcnt vmcnt(7)
	v_cndmask_b32_e64 v10, 0, v92, s[0:1]
	v_add_u32_e32 v92, 64, v95
	buffer_load_dwordx2 v[4:5], v4, s[44:47], 0 offen
	v_add_lshl_u32 v8, v12, s6, 1
	v_dot2c_f32_f16_e32 v31, v9, v13
	v_dot2c_f32_f16_e32 v26, v9, v14
	;; [unrolled: 1-line block ×3, first 2 shown]
	v_cmp_gt_i32_e64 s[4:5], s4, v92
	buffer_load_dwordx2 v[8:9], v8, s[44:47], 0 offen
	v_lshlrev_b32_e32 v2, 1, v6
	v_dot2c_f32_f16_e32 v45, v3, v13
	v_dot2c_f32_f16_e32 v42, v3, v14
	;; [unrolled: 1-line block ×6, first 2 shown]
	buffer_load_dwordx2 v[2:3], v2, s[44:47], 0 offen
	v_cndmask_b32_e64 v11, 0, v93, s[0:1]
	s_and_b64 vcc, vcc, s[4:5]
	v_lshlrev_b32_e32 v6, 1, v12
	v_or_b32_e32 v93, 1, v94
	s_waitcnt vmcnt(9)
	v_cndmask_b32_e32 v91, 0, v91, vcc
	buffer_load_dwordx2 v[6:7], v6, s[44:47], 0 offen
	v_cndmask_b32_e32 v90, 0, v90, vcc
	v_cmp_gt_i32_e32 vcc, s15, v93
	s_and_b64 s[0:1], vcc, s[2:3]
	s_and_b64 vcc, vcc, s[4:5]
	v_or_b32_e32 v100, 2, v94
	s_waitcnt vmcnt(9)
	v_cndmask_b32_e32 v98, 0, v83, vcc
	v_cndmask_b32_e32 v99, 0, v82, vcc
	v_cmp_gt_i32_e32 vcc, s15, v100
	s_waitcnt vmcnt(7)
	v_cndmask_b32_e64 v96, 0, v81, s[0:1]
	v_cndmask_b32_e64 v97, 0, v80, s[0:1]
	s_and_b64 s[0:1], vcc, s[2:3]
	s_waitcnt vmcnt(6)
	v_cndmask_b32_e64 v101, 0, v1, s[0:1]
	v_cndmask_b32_e64 v102, 0, v0, s[0:1]
	v_cvt_f32_f16_e32 v0, v10
	v_cvt_f32_f16_sdwa v1, v10 dst_sel:DWORD dst_unused:UNUSED_PAD src0_sel:WORD_1
	v_cvt_f32_f16_e32 v10, v11
	v_cvt_f32_f16_sdwa v11, v11 dst_sel:DWORD dst_unused:UNUSED_PAD src0_sel:WORD_1
	v_add_u32_e32 v80, s26, v12
	v_lshlrev_b32_e32 v12, 1, v80
	v_add_lshl_u32 v14, v80, s6, 1
	buffer_load_dwordx2 v[12:13], v12, s[44:47], 0 offen
	v_pk_add_f32 v[10:11], v[78:79], v[10:11]
	buffer_load_dwordx2 v[14:15], v14, s[44:47], 0 offen
	v_add_u32_e32 v78, s26, v80
	v_pk_add_f32 v[0:1], v[76:77], v[0:1]
	v_lshlrev_b32_e32 v76, 1, v78
	buffer_load_dwordx2 v[76:77], v76, s[44:47], 0 offen
	v_add_lshl_u32 v78, v78, s6, 1
	buffer_load_dwordx2 v[78:79], v78, s[44:47], 0 offen
	s_and_b64 vcc, vcc, s[4:5]
	v_or_b32_e32 v103, 3, v94
	v_max_f32_e32 v1, 0, v1
	v_max_f32_e32 v0, 0, v0
	s_waitcnt vmcnt(9)
	v_cndmask_b32_e32 v85, 0, v85, vcc
	v_cndmask_b32_e32 v84, 0, v84, vcc
	v_cmp_gt_i32_e32 vcc, s15, v103
	v_cvt_pk_f16_f32 v80, v0, v1
	v_max_f32_e32 v0, 0, v11
	v_max_f32_e32 v1, 0, v10
	s_and_b64 s[0:1], vcc, s[2:3]
	s_and_b64 vcc, vcc, s[4:5]
	v_cvt_pk_f16_f32 v81, v1, v0
	v_mul_lo_u32 v0, v94, s10
	v_cndmask_b32_e64 v87, 0, v87, s[0:1]
	v_cndmask_b32_e64 v86, 0, v86, s[0:1]
	s_waitcnt vmcnt(8)
	v_cndmask_b32_e32 v89, 0, v89, vcc
	v_cndmask_b32_e32 v88, 0, v88, vcc
	v_mad_u64_u32 v[10:11], s[0:1], v95, s11, v[0:1]
	v_cmp_gt_i32_e32 vcc, s13, v95
	v_cmp_gt_i32_e64 s[6:7], s12, v94
	v_bfrev_b32_e32 v0, 1
	s_and_b64 s[0:1], s[6:7], vcc
	v_cndmask_b32_e64 v1, v0, 0, s[0:1]
	s_waitcnt lgkmcnt(0)
	s_lshl_b32 s26, s38, 1
	s_and_b32 s25, s19, 0xffff
	s_mov_b32 s27, s31
	v_lshl_add_u32 v1, v10, 1, v1
	buffer_store_dwordx2 v[80:81], v1, s[24:27], 0 offen
	v_or_b32_e32 v1, 64, v94
	v_cvt_f32_f16_e32 v82, v90
	v_cvt_f32_f16_sdwa v83, v90 dst_sel:DWORD dst_unused:UNUSED_PAD src0_sel:WORD_1
	v_cmp_gt_i32_e64 s[0:1], s15, v1
	v_cvt_f32_f16_e32 v80, v91
	v_cvt_f32_f16_sdwa v81, v91 dst_sel:DWORD dst_unused:UNUSED_PAD src0_sel:WORD_1
	s_and_b64 s[8:9], s[0:1], s[2:3]
	s_and_b64 s[0:1], s[0:1], s[4:5]
	s_waitcnt vmcnt(8)
	v_cndmask_b32_e64 v11, 0, v4, s[0:1]
	v_or_b32_e32 v4, 0x41, v94
	v_cndmask_b32_e64 v5, 0, v5, s[0:1]
	v_cmp_gt_i32_e64 s[0:1], s15, v4
	v_pk_add_f32 v[74:75], v[74:75], v[82:83]
	v_pk_add_f32 v[72:73], v[72:73], v[80:81]
	s_waitcnt vmcnt(6)
	v_cndmask_b32_e64 v3, 0, v3, s[8:9]
	v_cndmask_b32_e64 v2, 0, v2, s[8:9]
	s_and_b64 s[8:9], s[0:1], s[2:3]
	s_and_b64 s[0:1], s[0:1], s[4:5]
	v_cndmask_b32_e64 v82, 0, v9, s[0:1]
	v_cndmask_b32_e64 v83, 0, v8, s[0:1]
	s_waitcnt vmcnt(5)
	v_cndmask_b32_e64 v80, 0, v7, s[8:9]
	v_cndmask_b32_e64 v81, 0, v6, s[8:9]
	v_max_f32_e32 v6, 0, v75
	v_max_f32_e32 v7, 0, v74
	;; [unrolled: 1-line block ×4, first 2 shown]
	v_cvt_pk_f16_f32 v6, v7, v6
	v_cvt_pk_f16_f32 v7, v9, v8
	v_cmp_gt_i32_e64 s[0:1], s13, v92
	v_cvt_f32_f16_e32 v8, v99
	v_cvt_f32_f16_sdwa v9, v99 dst_sel:DWORD dst_unused:UNUSED_PAD src0_sel:WORD_1
	s_lshl_b32 s11, s11, 6
	s_and_b64 s[6:7], s[6:7], s[0:1]
	v_add_u32_e32 v74, s11, v10
	v_cndmask_b32_e64 v75, v0, 0, s[6:7]
	v_lshl_add_u32 v75, v74, 1, v75
	v_cvt_f32_f16_e32 v72, v98
	v_cvt_f32_f16_sdwa v73, v98 dst_sel:DWORD dst_unused:UNUSED_PAD src0_sel:WORD_1
	buffer_store_dwordx2 v[6:7], v75, s[24:27], 0 offen
	v_pk_add_f32 v[6:7], v[68:69], v[8:9]
	v_or_b32_e32 v68, 0x42, v94
	v_cmp_gt_i32_e64 s[6:7], s15, v68
	s_and_b64 s[8:9], s[6:7], s[2:3]
	s_and_b64 s[6:7], s[6:7], s[4:5]
	v_or_b32_e32 v69, 0x43, v94
	s_waitcnt vmcnt(4)
	v_cndmask_b32_e64 v15, 0, v15, s[6:7]
	v_cndmask_b32_e64 v14, 0, v14, s[6:7]
	v_cmp_gt_i32_e64 s[6:7], s15, v69
	v_pk_add_f32 v[8:9], v[70:71], v[72:73]
	s_and_b64 s[2:3], s[6:7], s[2:3]
	v_max_f32_e32 v7, 0, v7
	v_max_f32_e32 v6, 0, v6
	;; [unrolled: 1-line block ×4, first 2 shown]
	s_waitcnt vmcnt(3)
	v_cndmask_b32_e64 v70, 0, v77, s[2:3]
	v_cndmask_b32_e64 v71, 0, v76, s[2:3]
	s_and_b64 s[2:3], s[6:7], s[4:5]
	v_cvt_pk_f16_f32 v6, v6, v7
	v_cvt_pk_f16_f32 v7, v8, v9
	s_waitcnt vmcnt(2)
	v_cndmask_b32_e64 v72, 0, v79, s[2:3]
	v_cndmask_b32_e64 v73, 0, v78, s[2:3]
	v_cmp_gt_i32_e64 s[2:3], s12, v93
	v_cvt_f32_f16_e32 v8, v97
	v_cvt_f32_f16_sdwa v9, v97 dst_sel:DWORD dst_unused:UNUSED_PAD src0_sel:WORD_1
	s_and_b64 s[4:5], s[2:3], s[0:1]
	v_add_u32_e32 v74, s10, v74
	v_cndmask_b32_e64 v75, v0, 0, s[4:5]
	v_lshl_add_u32 v75, v74, 1, v75
	buffer_store_dwordx2 v[6:7], v75, s[24:27], 0 offen
	v_pk_add_f32 v[6:7], v[66:67], v[8:9]
	v_cvt_f32_f16_e32 v8, v96
	v_cvt_f32_f16_sdwa v9, v96 dst_sel:DWORD dst_unused:UNUSED_PAD src0_sel:WORD_1
	v_max_f32_e32 v7, 0, v7
	v_max_f32_e32 v6, 0, v6
	v_cvt_pk_f16_f32 v6, v6, v7
	v_pk_add_f32 v[8:9], v[64:65], v[8:9]
	s_and_b64 s[2:3], s[2:3], vcc
	v_max_f32_e32 v7, 0, v9
	v_max_f32_e32 v8, 0, v8
	v_cvt_pk_f16_f32 v7, v8, v7
	v_cvt_f32_f16_e32 v8, v102
	v_cvt_f32_f16_sdwa v9, v102 dst_sel:DWORD dst_unused:UNUSED_PAD src0_sel:WORD_1
	v_add_u32_e32 v10, s10, v10
	v_cndmask_b32_e64 v64, v0, 0, s[2:3]
	v_lshl_add_u32 v64, v10, 1, v64
	buffer_store_dwordx2 v[6:7], v64, s[24:27], 0 offen
	v_pk_add_f32 v[6:7], v[62:63], v[8:9]
	v_cvt_f32_f16_e32 v8, v101
	v_cvt_f32_f16_sdwa v9, v101 dst_sel:DWORD dst_unused:UNUSED_PAD src0_sel:WORD_1
	v_max_f32_e32 v7, 0, v7
	v_max_f32_e32 v6, 0, v6
	v_cvt_pk_f16_f32 v6, v6, v7
	v_pk_add_f32 v[8:9], v[58:59], v[8:9]
	v_cmp_gt_i32_e64 s[2:3], s12, v100
	v_max_f32_e32 v7, 0, v9
	v_max_f32_e32 v8, 0, v8
	v_cvt_pk_f16_f32 v7, v8, v7
	v_cvt_f32_f16_e32 v8, v84
	v_cvt_f32_f16_sdwa v9, v84 dst_sel:DWORD dst_unused:UNUSED_PAD src0_sel:WORD_1
	s_and_b64 s[4:5], s[2:3], vcc
	v_add_u32_e32 v10, s10, v10
	v_cndmask_b32_e64 v58, v0, 0, s[4:5]
	v_lshl_add_u32 v10, v10, 1, v58
	buffer_store_dwordx2 v[6:7], v10, s[24:27], 0 offen
	v_pk_add_f32 v[6:7], v[60:61], v[8:9]
	v_cvt_f32_f16_e32 v8, v85
	v_cvt_f32_f16_sdwa v9, v85 dst_sel:DWORD dst_unused:UNUSED_PAD src0_sel:WORD_1
	v_max_f32_e32 v7, 0, v7
	v_max_f32_e32 v6, 0, v6
	v_cvt_pk_f16_f32 v6, v6, v7
	v_pk_add_f32 v[8:9], v[56:57], v[8:9]
	s_and_b64 s[2:3], s[2:3], s[0:1]
	v_max_f32_e32 v7, 0, v9
	v_max_f32_e32 v8, 0, v8
	v_cvt_pk_f16_f32 v7, v8, v7
	v_cvt_f32_f16_e32 v8, v88
	v_cvt_f32_f16_sdwa v9, v88 dst_sel:DWORD dst_unused:UNUSED_PAD src0_sel:WORD_1
	v_add_u32_e32 v10, s10, v74
	v_cndmask_b32_e64 v56, v0, 0, s[2:3]
	v_lshl_add_u32 v56, v10, 1, v56
	buffer_store_dwordx2 v[6:7], v56, s[24:27], 0 offen
	v_pk_add_f32 v[6:7], v[54:55], v[8:9]
	v_cvt_f32_f16_e32 v8, v89
	v_cvt_f32_f16_sdwa v9, v89 dst_sel:DWORD dst_unused:UNUSED_PAD src0_sel:WORD_1
	v_max_f32_e32 v7, 0, v7
	v_max_f32_e32 v6, 0, v6
	v_cvt_pk_f16_f32 v6, v6, v7
	v_pk_add_f32 v[8:9], v[52:53], v[8:9]
	v_cmp_gt_i32_e64 s[2:3], s12, v103
	v_max_f32_e32 v7, 0, v9
	v_max_f32_e32 v8, 0, v8
	v_cvt_pk_f16_f32 v7, v8, v7
	v_cvt_f32_f16_e32 v8, v86
	v_cvt_f32_f16_sdwa v9, v86 dst_sel:DWORD dst_unused:UNUSED_PAD src0_sel:WORD_1
	s_and_b64 s[4:5], s[2:3], s[0:1]
	v_add_u32_e32 v56, s10, v10
	v_cndmask_b32_e64 v52, v0, 0, s[4:5]
	v_lshl_add_u32 v52, v56, 1, v52
	buffer_store_dwordx2 v[6:7], v52, s[24:27], 0 offen
	v_pk_add_f32 v[6:7], v[44:45], v[8:9]
	v_cvt_f32_f16_e32 v8, v87
	v_cvt_f32_f16_sdwa v9, v87 dst_sel:DWORD dst_unused:UNUSED_PAD src0_sel:WORD_1
	v_max_f32_e32 v7, 0, v7
	v_max_f32_e32 v6, 0, v6
	v_cvt_pk_f16_f32 v6, v6, v7
	v_pk_add_f32 v[8:9], v[42:43], v[8:9]
	s_and_b64 s[2:3], s[2:3], vcc
	v_max_f32_e32 v7, 0, v9
	v_max_f32_e32 v8, 0, v8
	v_subrev_u32_e32 v52, s11, v56
	v_cvt_pk_f16_f32 v7, v8, v7
	v_cndmask_b32_e64 v8, v0, 0, s[2:3]
	v_lshl_add_u32 v42, v52, 1, v8
	v_cvt_f32_f16_e32 v8, v71
	v_cvt_f32_f16_sdwa v9, v71 dst_sel:DWORD dst_unused:UNUSED_PAD src0_sel:WORD_1
	buffer_store_dwordx2 v[6:7], v42, s[24:27], 0 offen
	v_cmp_gt_i32_e64 s[2:3], s12, v69
	s_lshl_b32 s6, s10, 6
	v_pk_add_f32 v[6:7], v[50:51], v[8:9]
	v_cvt_f32_f16_e32 v8, v70
	v_cvt_f32_f16_sdwa v9, v70 dst_sel:DWORD dst_unused:UNUSED_PAD src0_sel:WORD_1
	v_max_f32_e32 v7, 0, v7
	v_max_f32_e32 v6, 0, v6
	v_cvt_pk_f16_f32 v6, v6, v7
	v_pk_add_f32 v[8:9], v[46:47], v[8:9]
	s_and_b64 s[4:5], s[2:3], vcc
	v_max_f32_e32 v7, 0, v9
	v_max_f32_e32 v8, 0, v8
	v_cvt_pk_f16_f32 v7, v8, v7
	v_cvt_f32_f16_e32 v8, v73
	v_cvt_f32_f16_sdwa v9, v73 dst_sel:DWORD dst_unused:UNUSED_PAD src0_sel:WORD_1
	v_add_u32_e32 v42, s6, v52
	v_cndmask_b32_e64 v43, v0, 0, s[4:5]
	v_lshl_add_u32 v42, v42, 1, v43
	buffer_store_dwordx2 v[6:7], v42, s[24:27], 0 offen
	v_pk_add_f32 v[6:7], v[48:49], v[8:9]
	v_cvt_f32_f16_e32 v8, v72
	v_cvt_f32_f16_sdwa v9, v72 dst_sel:DWORD dst_unused:UNUSED_PAD src0_sel:WORD_1
	v_max_f32_e32 v7, 0, v7
	v_max_f32_e32 v6, 0, v6
	v_cvt_pk_f16_f32 v6, v6, v7
	v_pk_add_f32 v[8:9], v[32:33], v[8:9]
	s_and_b64 s[2:3], s[2:3], s[0:1]
	v_max_f32_e32 v7, 0, v9
	v_max_f32_e32 v8, 0, v8
	v_cvt_pk_f16_f32 v7, v8, v7
	v_cvt_f32_f16_e32 v8, v14
	v_cvt_f32_f16_sdwa v9, v14 dst_sel:DWORD dst_unused:UNUSED_PAD src0_sel:WORD_1
	v_add_u32_e32 v42, s6, v56
	v_cndmask_b32_e64 v32, v0, 0, s[2:3]
	v_lshl_add_u32 v14, v42, 1, v32
	buffer_store_dwordx2 v[6:7], v14, s[24:27], 0 offen
	v_pk_add_f32 v[6:7], v[40:41], v[8:9]
	v_cvt_f32_f16_e32 v8, v15
	v_cvt_f32_f16_sdwa v9, v15 dst_sel:DWORD dst_unused:UNUSED_PAD src0_sel:WORD_1
	v_max_f32_e32 v7, 0, v7
	v_max_f32_e32 v6, 0, v6
	v_cndmask_b32_e64 v12, 0, v12, s[8:9]
	v_pk_add_f32 v[8:9], v[38:39], v[8:9]
	v_cvt_pk_f16_f32 v6, v6, v7
	v_max_f32_e32 v7, 0, v9
	v_max_f32_e32 v8, 0, v8
	v_cvt_pk_f16_f32 v7, v8, v7
	v_cmp_ge_i32_e64 s[2:3], s12, v69
	v_cvt_f32_f16_e32 v8, v12
	v_cvt_f32_f16_sdwa v9, v12 dst_sel:DWORD dst_unused:UNUSED_PAD src0_sel:WORD_1
	s_and_b64 s[2:3], s[2:3], s[0:1]
	v_add_u32_e32 v10, s6, v10
	v_cndmask_b32_e64 v14, v0, 0, s[2:3]
	v_cndmask_b32_e64 v13, 0, v13, s[8:9]
	v_lshl_add_u32 v12, v10, 1, v14
	buffer_store_dwordx2 v[6:7], v12, s[24:27], 0 offen
	v_pk_add_f32 v[6:7], v[36:37], v[8:9]
	v_cvt_f32_f16_e32 v8, v13
	v_cvt_f32_f16_sdwa v9, v13 dst_sel:DWORD dst_unused:UNUSED_PAD src0_sel:WORD_1
	v_max_f32_e32 v7, 0, v7
	v_max_f32_e32 v6, 0, v6
	v_cvt_pk_f16_f32 v6, v6, v7
	v_pk_add_f32 v[8:9], v[34:35], v[8:9]
	v_cmp_gt_i32_e64 s[2:3], s12, v68
	v_max_f32_e32 v7, 0, v9
	v_max_f32_e32 v8, 0, v8
	v_cvt_pk_f16_f32 v7, v8, v7
	v_cvt_f32_f16_e32 v8, v81
	v_cvt_f32_f16_sdwa v9, v81 dst_sel:DWORD dst_unused:UNUSED_PAD src0_sel:WORD_1
	s_and_b64 s[2:3], s[2:3], vcc
	v_subrev_u32_e32 v10, s11, v10
	v_cndmask_b32_e64 v12, v0, 0, s[2:3]
	v_lshl_add_u32 v12, v10, 1, v12
	buffer_store_dwordx2 v[6:7], v12, s[24:27], 0 offen
	v_pk_add_f32 v[6:7], v[30:31], v[8:9]
	v_cvt_f32_f16_e32 v8, v80
	v_cvt_f32_f16_sdwa v9, v80 dst_sel:DWORD dst_unused:UNUSED_PAD src0_sel:WORD_1
	v_max_f32_e32 v7, 0, v7
	v_max_f32_e32 v6, 0, v6
	v_cvt_pk_f16_f32 v6, v6, v7
	v_pk_add_f32 v[8:9], v[26:27], v[8:9]
	v_cmp_ge_i32_e64 s[2:3], s12, v68
	v_max_f32_e32 v7, 0, v9
	v_max_f32_e32 v8, 0, v8
	v_cvt_pk_f16_f32 v7, v8, v7
	v_cvt_f32_f16_e32 v8, v83
	v_cvt_f32_f16_sdwa v9, v83 dst_sel:DWORD dst_unused:UNUSED_PAD src0_sel:WORD_1
	s_and_b64 s[2:3], s[2:3], vcc
	v_subrev_u32_e32 v10, s10, v10
	v_cndmask_b32_e64 v12, v0, 0, s[2:3]
	v_lshl_add_u32 v12, v10, 1, v12
	buffer_store_dwordx2 v[6:7], v12, s[24:27], 0 offen
	v_pk_add_f32 v[6:7], v[28:29], v[8:9]
	v_cvt_f32_f16_e32 v8, v82
	v_cvt_f32_f16_sdwa v9, v82 dst_sel:DWORD dst_unused:UNUSED_PAD src0_sel:WORD_1
	v_max_f32_e32 v7, 0, v7
	v_max_f32_e32 v6, 0, v6
	v_cvt_pk_f16_f32 v6, v6, v7
	v_pk_add_f32 v[8:9], v[24:25], v[8:9]
	v_cmp_gt_i32_e64 s[2:3], s12, v4
	v_max_f32_e32 v7, 0, v9
	v_max_f32_e32 v8, 0, v8
	v_cvt_pk_f16_f32 v7, v8, v7
	v_cvt_f32_f16_e32 v8, v11
	v_cvt_f32_f16_sdwa v9, v11 dst_sel:DWORD dst_unused:UNUSED_PAD src0_sel:WORD_1
	s_and_b64 s[2:3], s[2:3], s[0:1]
	v_add_u32_e32 v10, s11, v10
	v_cndmask_b32_e64 v12, v0, 0, s[2:3]
	v_lshl_add_u32 v11, v10, 1, v12
	buffer_store_dwordx2 v[6:7], v11, s[24:27], 0 offen
	v_pk_add_f32 v[6:7], v[22:23], v[8:9]
	v_cvt_f32_f16_e32 v8, v5
	v_cvt_f32_f16_sdwa v9, v5 dst_sel:DWORD dst_unused:UNUSED_PAD src0_sel:WORD_1
	v_cmp_ge_i32_e64 s[2:3], s12, v4
	v_max_f32_e32 v5, 0, v7
	v_max_f32_e32 v6, 0, v6
	v_pk_add_f32 v[8:9], v[20:21], v[8:9]
	s_and_b64 s[0:1], s[2:3], s[0:1]
	v_subrev_u32_e32 v10, s10, v10
	v_cvt_pk_f16_f32 v6, v6, v5
	v_max_f32_e32 v5, 0, v9
	v_max_f32_e32 v7, 0, v8
	v_cndmask_b32_e64 v8, v0, 0, s[0:1]
	v_cvt_pk_f16_f32 v7, v7, v5
	v_cvt_f32_f16_e32 v4, v2
	v_cvt_f32_f16_sdwa v5, v2 dst_sel:DWORD dst_unused:UNUSED_PAD src0_sel:WORD_1
	v_lshl_add_u32 v2, v10, 1, v8
	buffer_store_dwordx2 v[6:7], v2, s[24:27], 0 offen
	v_cvt_f32_f16_e32 v2, v3
	v_cvt_f32_f16_sdwa v3, v3 dst_sel:DWORD dst_unused:UNUSED_PAD src0_sel:WORD_1
	v_cmp_gt_i32_e64 s[0:1], s12, v1
	v_pk_add_f32 v[4:5], v[18:19], v[4:5]
	s_and_b64 s[0:1], s[0:1], vcc
	v_pk_add_f32 v[2:3], v[16:17], v[2:3]
	v_subrev_u32_e32 v6, s11, v10
	v_max_f32_e32 v5, 0, v5
	v_max_f32_e32 v4, 0, v4
	;; [unrolled: 1-line block ×4, first 2 shown]
	v_cndmask_b32_e64 v0, v0, 0, s[0:1]
	v_cvt_pk_f16_f32 v4, v4, v5
	v_cvt_pk_f16_f32 v5, v2, v3
	v_lshl_add_u32 v0, v6, 1, v0
	buffer_store_dwordx2 v[4:5], v0, s[24:27], 0 offen
	s_endpgm
	.section	.rodata,"a",@progbits
	.p2align	6, 0x0
	.amdhsa_kernel _ZN2ck16tensor_operation6device12_GLOBAL__N_137kernel_grouped_conv_fwd_dl_multiple_dINS_32GridwiseGemmDlMultipleD_km_kn_mnILi256EDF16_fNS_5TupleIJDF16_EEEDF16_NS0_12element_wise11PassThroughES8_NS7_7AddReluELNS_25InMemoryDataOperationEnumE0ENS_16TensorDescriptorINS5_IJNS_5EmbedINS5_IJiiiiiEEESD_Lb0EEENS_11PassThroughIiEENS_3PadIiiiLb0EEESI_SI_SG_SG_NSC_INS5_IJiiEEESJ_Lb0EEESK_SK_SG_NS_23Merge_v2_magic_divisionINS5_IJiiiiEEEEESN_NS_8RightPadIiiLb0EEESP_NS_7UnMergeISJ_Lb0EEESG_EEENS5_IJNS_8SequenceIJLi0EEEENST_IJLi1EEEENST_IJLi2EEEENST_IJLi3EEEENST_IJLi4EEEENST_IJLi5EEEENST_IJLi6EEEENST_IJLi7EEEENST_IJLi8EEEENST_IJLi9EEEENST_IJLi10EEEENST_IJLi11ELi13ELi15ELi17EEEENST_IJLi12ELi14ELi16ELi18EEEENST_IJLi19EEEENST_IJLi20EEEENST_IJLi22EEEENST_IJLi21EEEEEEENS5_IJNST_IJLi1ELi2ELi3ELi4ELi5EEEES10_S11_S12_S13_S14_NST_IJLi11EEEENST_IJLi12ELi13EEEENST_IJLi14ELi15EEEENST_IJLi16ELi17EEEENST_IJLi18EEEES17_S18_S1A_S19_NST_IJLi23ELi24EEEENST_IJLi25EEEEEEENST_IJLi23ELi25ELi24EEEElEENSB_INS5_IJSR_SP_SP_SR_SG_EEENS5_IJSU_SV_SW_SY_SX_EEENS5_IJNST_IJLi1ELi2EEEESX_SY_NST_IJLi5ELi6EEEES11_EEENST_IJLi5ELi7ELi6EEEElEENSB_INS5_IJSK_SP_SP_EEENS5_IJSU_SV_SW_EEENS5_IJS1P_SX_SY_EEENST_IJLi3ELi4EEEElEELi128ELi128ELi16ELi2ELi4ELi4ELi1ENST_IJLi8ELi2EEEES1Z_NST_IJLi8ELi1ELi1ELi2EEEENST_IJLi2ELi1ELi128ELi1EEEENST_IJLi1ELi2ELi0ELi3EEEES22_NST_IJLi4ELi1ELi1ELi2EEEES22_NST_IJLi1ELi1ELi1ELi2EEEES20_S21_S22_S22_S23_S22_S24_NST_IJLi0ELi1ELi2ELi3ELi4ELi5EEEELi5ELi4EEEDF16_NS5_IJPKDF16_EEEDF16_S8_S8_S9_NSB_INS5_IJSE_SG_SI_SI_SI_SG_SG_SK_SK_SK_SG_SN_SN_SP_SP_SR_SG_SG_NSQ_INS5_IJiNS_17integral_constantIiLi128EEEEEELb0EEENSF_INS2A_IiLi2EEEEEEEENS5_IJSU_SV_SW_SX_SY_SZ_S10_S11_S12_S13_S14_S15_S16_S17_S18_S19_S1A_NST_IJLi23EEEES1J_NST_IJLi24EEEEEEENS5_IJS1C_S10_S11_S12_S13_S14_S1D_S1E_S1F_S1G_S1H_S17_S18_S1A_S19_S1I_S1J_NST_IJLi26EEEENST_IJLi27ELi28EEEENST_IJLi29EEEEEEENST_IJLi26ELi27ELi28ELi29EEEElEENSB_INS5_IJSR_SP_SP_SR_SG_SG_S2D_S2F_EEENS5_IJSU_SV_SW_SY_SX_SZ_S11_S10_EEENS5_IJS1P_SX_SY_S1Q_S11_S12_NST_IJLi9ELi10EEEES1D_EEENST_IJLi8ELi9ELi10ELi11EEEElEENS5_IJNSB_INS5_IJSK_SP_SP_NSQ_INS5_IJiS2E_NS2A_IiLi64EEEEEELb0EEES2Y_EEENS5_IJSU_SV_SW_SX_SY_EEENS5_IJS1P_SX_SY_NST_IJLi5ELi6ELi7EEEENST_IJLi8ELi9ELi10EEEEEEENST_IJLi5ELi6ELi7ELi8ELi9ELi10EEEElEEEEES35_NS_31BlockToCTileMap_M00_N00_M01_N01ILi128ELi128ES1Y_Lb0EEENS1_30ComputePtrOffsetOfStridedBatchILi1ELi1ELi1EvEELb0ELb1EEEvPKT0_S3D_T1_PT2_T3_T4_T5_iT6_T7_T8_T9_T10_T11_
		.amdhsa_group_segment_fixed_size 32768
		.amdhsa_private_segment_fixed_size 0
		.amdhsa_kernarg_size 1024
		.amdhsa_user_sgpr_count 2
		.amdhsa_user_sgpr_dispatch_ptr 0
		.amdhsa_user_sgpr_queue_ptr 0
		.amdhsa_user_sgpr_kernarg_segment_ptr 1
		.amdhsa_user_sgpr_dispatch_id 0
		.amdhsa_user_sgpr_kernarg_preload_length 0
		.amdhsa_user_sgpr_kernarg_preload_offset 0
		.amdhsa_user_sgpr_private_segment_size 0
		.amdhsa_uses_dynamic_stack 0
		.amdhsa_enable_private_segment 0
		.amdhsa_system_sgpr_workgroup_id_x 1
		.amdhsa_system_sgpr_workgroup_id_y 0
		.amdhsa_system_sgpr_workgroup_id_z 0
		.amdhsa_system_sgpr_workgroup_info 0
		.amdhsa_system_vgpr_workitem_id 0
		.amdhsa_next_free_vgpr 117
		.amdhsa_next_free_sgpr 96
		.amdhsa_accum_offset 120
		.amdhsa_reserve_vcc 1
		.amdhsa_float_round_mode_32 0
		.amdhsa_float_round_mode_16_64 0
		.amdhsa_float_denorm_mode_32 3
		.amdhsa_float_denorm_mode_16_64 3
		.amdhsa_dx10_clamp 1
		.amdhsa_ieee_mode 1
		.amdhsa_fp16_overflow 0
		.amdhsa_tg_split 0
		.amdhsa_exception_fp_ieee_invalid_op 0
		.amdhsa_exception_fp_denorm_src 0
		.amdhsa_exception_fp_ieee_div_zero 0
		.amdhsa_exception_fp_ieee_overflow 0
		.amdhsa_exception_fp_ieee_underflow 0
		.amdhsa_exception_fp_ieee_inexact 0
		.amdhsa_exception_int_div_zero 0
	.end_amdhsa_kernel
	.section	.text._ZN2ck16tensor_operation6device12_GLOBAL__N_137kernel_grouped_conv_fwd_dl_multiple_dINS_32GridwiseGemmDlMultipleD_km_kn_mnILi256EDF16_fNS_5TupleIJDF16_EEEDF16_NS0_12element_wise11PassThroughES8_NS7_7AddReluELNS_25InMemoryDataOperationEnumE0ENS_16TensorDescriptorINS5_IJNS_5EmbedINS5_IJiiiiiEEESD_Lb0EEENS_11PassThroughIiEENS_3PadIiiiLb0EEESI_SI_SG_SG_NSC_INS5_IJiiEEESJ_Lb0EEESK_SK_SG_NS_23Merge_v2_magic_divisionINS5_IJiiiiEEEEESN_NS_8RightPadIiiLb0EEESP_NS_7UnMergeISJ_Lb0EEESG_EEENS5_IJNS_8SequenceIJLi0EEEENST_IJLi1EEEENST_IJLi2EEEENST_IJLi3EEEENST_IJLi4EEEENST_IJLi5EEEENST_IJLi6EEEENST_IJLi7EEEENST_IJLi8EEEENST_IJLi9EEEENST_IJLi10EEEENST_IJLi11ELi13ELi15ELi17EEEENST_IJLi12ELi14ELi16ELi18EEEENST_IJLi19EEEENST_IJLi20EEEENST_IJLi22EEEENST_IJLi21EEEEEEENS5_IJNST_IJLi1ELi2ELi3ELi4ELi5EEEES10_S11_S12_S13_S14_NST_IJLi11EEEENST_IJLi12ELi13EEEENST_IJLi14ELi15EEEENST_IJLi16ELi17EEEENST_IJLi18EEEES17_S18_S1A_S19_NST_IJLi23ELi24EEEENST_IJLi25EEEEEEENST_IJLi23ELi25ELi24EEEElEENSB_INS5_IJSR_SP_SP_SR_SG_EEENS5_IJSU_SV_SW_SY_SX_EEENS5_IJNST_IJLi1ELi2EEEESX_SY_NST_IJLi5ELi6EEEES11_EEENST_IJLi5ELi7ELi6EEEElEENSB_INS5_IJSK_SP_SP_EEENS5_IJSU_SV_SW_EEENS5_IJS1P_SX_SY_EEENST_IJLi3ELi4EEEElEELi128ELi128ELi16ELi2ELi4ELi4ELi1ENST_IJLi8ELi2EEEES1Z_NST_IJLi8ELi1ELi1ELi2EEEENST_IJLi2ELi1ELi128ELi1EEEENST_IJLi1ELi2ELi0ELi3EEEES22_NST_IJLi4ELi1ELi1ELi2EEEES22_NST_IJLi1ELi1ELi1ELi2EEEES20_S21_S22_S22_S23_S22_S24_NST_IJLi0ELi1ELi2ELi3ELi4ELi5EEEELi5ELi4EEEDF16_NS5_IJPKDF16_EEEDF16_S8_S8_S9_NSB_INS5_IJSE_SG_SI_SI_SI_SG_SG_SK_SK_SK_SG_SN_SN_SP_SP_SR_SG_SG_NSQ_INS5_IJiNS_17integral_constantIiLi128EEEEEELb0EEENSF_INS2A_IiLi2EEEEEEEENS5_IJSU_SV_SW_SX_SY_SZ_S10_S11_S12_S13_S14_S15_S16_S17_S18_S19_S1A_NST_IJLi23EEEES1J_NST_IJLi24EEEEEEENS5_IJS1C_S10_S11_S12_S13_S14_S1D_S1E_S1F_S1G_S1H_S17_S18_S1A_S19_S1I_S1J_NST_IJLi26EEEENST_IJLi27ELi28EEEENST_IJLi29EEEEEEENST_IJLi26ELi27ELi28ELi29EEEElEENSB_INS5_IJSR_SP_SP_SR_SG_SG_S2D_S2F_EEENS5_IJSU_SV_SW_SY_SX_SZ_S11_S10_EEENS5_IJS1P_SX_SY_S1Q_S11_S12_NST_IJLi9ELi10EEEES1D_EEENST_IJLi8ELi9ELi10ELi11EEEElEENS5_IJNSB_INS5_IJSK_SP_SP_NSQ_INS5_IJiS2E_NS2A_IiLi64EEEEEELb0EEES2Y_EEENS5_IJSU_SV_SW_SX_SY_EEENS5_IJS1P_SX_SY_NST_IJLi5ELi6ELi7EEEENST_IJLi8ELi9ELi10EEEEEEENST_IJLi5ELi6ELi7ELi8ELi9ELi10EEEElEEEEES35_NS_31BlockToCTileMap_M00_N00_M01_N01ILi128ELi128ES1Y_Lb0EEENS1_30ComputePtrOffsetOfStridedBatchILi1ELi1ELi1EvEELb0ELb1EEEvPKT0_S3D_T1_PT2_T3_T4_T5_iT6_T7_T8_T9_T10_T11_,"axG",@progbits,_ZN2ck16tensor_operation6device12_GLOBAL__N_137kernel_grouped_conv_fwd_dl_multiple_dINS_32GridwiseGemmDlMultipleD_km_kn_mnILi256EDF16_fNS_5TupleIJDF16_EEEDF16_NS0_12element_wise11PassThroughES8_NS7_7AddReluELNS_25InMemoryDataOperationEnumE0ENS_16TensorDescriptorINS5_IJNS_5EmbedINS5_IJiiiiiEEESD_Lb0EEENS_11PassThroughIiEENS_3PadIiiiLb0EEESI_SI_SG_SG_NSC_INS5_IJiiEEESJ_Lb0EEESK_SK_SG_NS_23Merge_v2_magic_divisionINS5_IJiiiiEEEEESN_NS_8RightPadIiiLb0EEESP_NS_7UnMergeISJ_Lb0EEESG_EEENS5_IJNS_8SequenceIJLi0EEEENST_IJLi1EEEENST_IJLi2EEEENST_IJLi3EEEENST_IJLi4EEEENST_IJLi5EEEENST_IJLi6EEEENST_IJLi7EEEENST_IJLi8EEEENST_IJLi9EEEENST_IJLi10EEEENST_IJLi11ELi13ELi15ELi17EEEENST_IJLi12ELi14ELi16ELi18EEEENST_IJLi19EEEENST_IJLi20EEEENST_IJLi22EEEENST_IJLi21EEEEEEENS5_IJNST_IJLi1ELi2ELi3ELi4ELi5EEEES10_S11_S12_S13_S14_NST_IJLi11EEEENST_IJLi12ELi13EEEENST_IJLi14ELi15EEEENST_IJLi16ELi17EEEENST_IJLi18EEEES17_S18_S1A_S19_NST_IJLi23ELi24EEEENST_IJLi25EEEEEEENST_IJLi23ELi25ELi24EEEElEENSB_INS5_IJSR_SP_SP_SR_SG_EEENS5_IJSU_SV_SW_SY_SX_EEENS5_IJNST_IJLi1ELi2EEEESX_SY_NST_IJLi5ELi6EEEES11_EEENST_IJLi5ELi7ELi6EEEElEENSB_INS5_IJSK_SP_SP_EEENS5_IJSU_SV_SW_EEENS5_IJS1P_SX_SY_EEENST_IJLi3ELi4EEEElEELi128ELi128ELi16ELi2ELi4ELi4ELi1ENST_IJLi8ELi2EEEES1Z_NST_IJLi8ELi1ELi1ELi2EEEENST_IJLi2ELi1ELi128ELi1EEEENST_IJLi1ELi2ELi0ELi3EEEES22_NST_IJLi4ELi1ELi1ELi2EEEES22_NST_IJLi1ELi1ELi1ELi2EEEES20_S21_S22_S22_S23_S22_S24_NST_IJLi0ELi1ELi2ELi3ELi4ELi5EEEELi5ELi4EEEDF16_NS5_IJPKDF16_EEEDF16_S8_S8_S9_NSB_INS5_IJSE_SG_SI_SI_SI_SG_SG_SK_SK_SK_SG_SN_SN_SP_SP_SR_SG_SG_NSQ_INS5_IJiNS_17integral_constantIiLi128EEEEEELb0EEENSF_INS2A_IiLi2EEEEEEEENS5_IJSU_SV_SW_SX_SY_SZ_S10_S11_S12_S13_S14_S15_S16_S17_S18_S19_S1A_NST_IJLi23EEEES1J_NST_IJLi24EEEEEEENS5_IJS1C_S10_S11_S12_S13_S14_S1D_S1E_S1F_S1G_S1H_S17_S18_S1A_S19_S1I_S1J_NST_IJLi26EEEENST_IJLi27ELi28EEEENST_IJLi29EEEEEEENST_IJLi26ELi27ELi28ELi29EEEElEENSB_INS5_IJSR_SP_SP_SR_SG_SG_S2D_S2F_EEENS5_IJSU_SV_SW_SY_SX_SZ_S11_S10_EEENS5_IJS1P_SX_SY_S1Q_S11_S12_NST_IJLi9ELi10EEEES1D_EEENST_IJLi8ELi9ELi10ELi11EEEElEENS5_IJNSB_INS5_IJSK_SP_SP_NSQ_INS5_IJiS2E_NS2A_IiLi64EEEEEELb0EEES2Y_EEENS5_IJSU_SV_SW_SX_SY_EEENS5_IJS1P_SX_SY_NST_IJLi5ELi6ELi7EEEENST_IJLi8ELi9ELi10EEEEEEENST_IJLi5ELi6ELi7ELi8ELi9ELi10EEEElEEEEES35_NS_31BlockToCTileMap_M00_N00_M01_N01ILi128ELi128ES1Y_Lb0EEENS1_30ComputePtrOffsetOfStridedBatchILi1ELi1ELi1EvEELb0ELb1EEEvPKT0_S3D_T1_PT2_T3_T4_T5_iT6_T7_T8_T9_T10_T11_,comdat
.Lfunc_end11:
	.size	_ZN2ck16tensor_operation6device12_GLOBAL__N_137kernel_grouped_conv_fwd_dl_multiple_dINS_32GridwiseGemmDlMultipleD_km_kn_mnILi256EDF16_fNS_5TupleIJDF16_EEEDF16_NS0_12element_wise11PassThroughES8_NS7_7AddReluELNS_25InMemoryDataOperationEnumE0ENS_16TensorDescriptorINS5_IJNS_5EmbedINS5_IJiiiiiEEESD_Lb0EEENS_11PassThroughIiEENS_3PadIiiiLb0EEESI_SI_SG_SG_NSC_INS5_IJiiEEESJ_Lb0EEESK_SK_SG_NS_23Merge_v2_magic_divisionINS5_IJiiiiEEEEESN_NS_8RightPadIiiLb0EEESP_NS_7UnMergeISJ_Lb0EEESG_EEENS5_IJNS_8SequenceIJLi0EEEENST_IJLi1EEEENST_IJLi2EEEENST_IJLi3EEEENST_IJLi4EEEENST_IJLi5EEEENST_IJLi6EEEENST_IJLi7EEEENST_IJLi8EEEENST_IJLi9EEEENST_IJLi10EEEENST_IJLi11ELi13ELi15ELi17EEEENST_IJLi12ELi14ELi16ELi18EEEENST_IJLi19EEEENST_IJLi20EEEENST_IJLi22EEEENST_IJLi21EEEEEEENS5_IJNST_IJLi1ELi2ELi3ELi4ELi5EEEES10_S11_S12_S13_S14_NST_IJLi11EEEENST_IJLi12ELi13EEEENST_IJLi14ELi15EEEENST_IJLi16ELi17EEEENST_IJLi18EEEES17_S18_S1A_S19_NST_IJLi23ELi24EEEENST_IJLi25EEEEEEENST_IJLi23ELi25ELi24EEEElEENSB_INS5_IJSR_SP_SP_SR_SG_EEENS5_IJSU_SV_SW_SY_SX_EEENS5_IJNST_IJLi1ELi2EEEESX_SY_NST_IJLi5ELi6EEEES11_EEENST_IJLi5ELi7ELi6EEEElEENSB_INS5_IJSK_SP_SP_EEENS5_IJSU_SV_SW_EEENS5_IJS1P_SX_SY_EEENST_IJLi3ELi4EEEElEELi128ELi128ELi16ELi2ELi4ELi4ELi1ENST_IJLi8ELi2EEEES1Z_NST_IJLi8ELi1ELi1ELi2EEEENST_IJLi2ELi1ELi128ELi1EEEENST_IJLi1ELi2ELi0ELi3EEEES22_NST_IJLi4ELi1ELi1ELi2EEEES22_NST_IJLi1ELi1ELi1ELi2EEEES20_S21_S22_S22_S23_S22_S24_NST_IJLi0ELi1ELi2ELi3ELi4ELi5EEEELi5ELi4EEEDF16_NS5_IJPKDF16_EEEDF16_S8_S8_S9_NSB_INS5_IJSE_SG_SI_SI_SI_SG_SG_SK_SK_SK_SG_SN_SN_SP_SP_SR_SG_SG_NSQ_INS5_IJiNS_17integral_constantIiLi128EEEEEELb0EEENSF_INS2A_IiLi2EEEEEEEENS5_IJSU_SV_SW_SX_SY_SZ_S10_S11_S12_S13_S14_S15_S16_S17_S18_S19_S1A_NST_IJLi23EEEES1J_NST_IJLi24EEEEEEENS5_IJS1C_S10_S11_S12_S13_S14_S1D_S1E_S1F_S1G_S1H_S17_S18_S1A_S19_S1I_S1J_NST_IJLi26EEEENST_IJLi27ELi28EEEENST_IJLi29EEEEEEENST_IJLi26ELi27ELi28ELi29EEEElEENSB_INS5_IJSR_SP_SP_SR_SG_SG_S2D_S2F_EEENS5_IJSU_SV_SW_SY_SX_SZ_S11_S10_EEENS5_IJS1P_SX_SY_S1Q_S11_S12_NST_IJLi9ELi10EEEES1D_EEENST_IJLi8ELi9ELi10ELi11EEEElEENS5_IJNSB_INS5_IJSK_SP_SP_NSQ_INS5_IJiS2E_NS2A_IiLi64EEEEEELb0EEES2Y_EEENS5_IJSU_SV_SW_SX_SY_EEENS5_IJS1P_SX_SY_NST_IJLi5ELi6ELi7EEEENST_IJLi8ELi9ELi10EEEEEEENST_IJLi5ELi6ELi7ELi8ELi9ELi10EEEElEEEEES35_NS_31BlockToCTileMap_M00_N00_M01_N01ILi128ELi128ES1Y_Lb0EEENS1_30ComputePtrOffsetOfStridedBatchILi1ELi1ELi1EvEELb0ELb1EEEvPKT0_S3D_T1_PT2_T3_T4_T5_iT6_T7_T8_T9_T10_T11_, .Lfunc_end11-_ZN2ck16tensor_operation6device12_GLOBAL__N_137kernel_grouped_conv_fwd_dl_multiple_dINS_32GridwiseGemmDlMultipleD_km_kn_mnILi256EDF16_fNS_5TupleIJDF16_EEEDF16_NS0_12element_wise11PassThroughES8_NS7_7AddReluELNS_25InMemoryDataOperationEnumE0ENS_16TensorDescriptorINS5_IJNS_5EmbedINS5_IJiiiiiEEESD_Lb0EEENS_11PassThroughIiEENS_3PadIiiiLb0EEESI_SI_SG_SG_NSC_INS5_IJiiEEESJ_Lb0EEESK_SK_SG_NS_23Merge_v2_magic_divisionINS5_IJiiiiEEEEESN_NS_8RightPadIiiLb0EEESP_NS_7UnMergeISJ_Lb0EEESG_EEENS5_IJNS_8SequenceIJLi0EEEENST_IJLi1EEEENST_IJLi2EEEENST_IJLi3EEEENST_IJLi4EEEENST_IJLi5EEEENST_IJLi6EEEENST_IJLi7EEEENST_IJLi8EEEENST_IJLi9EEEENST_IJLi10EEEENST_IJLi11ELi13ELi15ELi17EEEENST_IJLi12ELi14ELi16ELi18EEEENST_IJLi19EEEENST_IJLi20EEEENST_IJLi22EEEENST_IJLi21EEEEEEENS5_IJNST_IJLi1ELi2ELi3ELi4ELi5EEEES10_S11_S12_S13_S14_NST_IJLi11EEEENST_IJLi12ELi13EEEENST_IJLi14ELi15EEEENST_IJLi16ELi17EEEENST_IJLi18EEEES17_S18_S1A_S19_NST_IJLi23ELi24EEEENST_IJLi25EEEEEEENST_IJLi23ELi25ELi24EEEElEENSB_INS5_IJSR_SP_SP_SR_SG_EEENS5_IJSU_SV_SW_SY_SX_EEENS5_IJNST_IJLi1ELi2EEEESX_SY_NST_IJLi5ELi6EEEES11_EEENST_IJLi5ELi7ELi6EEEElEENSB_INS5_IJSK_SP_SP_EEENS5_IJSU_SV_SW_EEENS5_IJS1P_SX_SY_EEENST_IJLi3ELi4EEEElEELi128ELi128ELi16ELi2ELi4ELi4ELi1ENST_IJLi8ELi2EEEES1Z_NST_IJLi8ELi1ELi1ELi2EEEENST_IJLi2ELi1ELi128ELi1EEEENST_IJLi1ELi2ELi0ELi3EEEES22_NST_IJLi4ELi1ELi1ELi2EEEES22_NST_IJLi1ELi1ELi1ELi2EEEES20_S21_S22_S22_S23_S22_S24_NST_IJLi0ELi1ELi2ELi3ELi4ELi5EEEELi5ELi4EEEDF16_NS5_IJPKDF16_EEEDF16_S8_S8_S9_NSB_INS5_IJSE_SG_SI_SI_SI_SG_SG_SK_SK_SK_SG_SN_SN_SP_SP_SR_SG_SG_NSQ_INS5_IJiNS_17integral_constantIiLi128EEEEEELb0EEENSF_INS2A_IiLi2EEEEEEEENS5_IJSU_SV_SW_SX_SY_SZ_S10_S11_S12_S13_S14_S15_S16_S17_S18_S19_S1A_NST_IJLi23EEEES1J_NST_IJLi24EEEEEEENS5_IJS1C_S10_S11_S12_S13_S14_S1D_S1E_S1F_S1G_S1H_S17_S18_S1A_S19_S1I_S1J_NST_IJLi26EEEENST_IJLi27ELi28EEEENST_IJLi29EEEEEEENST_IJLi26ELi27ELi28ELi29EEEElEENSB_INS5_IJSR_SP_SP_SR_SG_SG_S2D_S2F_EEENS5_IJSU_SV_SW_SY_SX_SZ_S11_S10_EEENS5_IJS1P_SX_SY_S1Q_S11_S12_NST_IJLi9ELi10EEEES1D_EEENST_IJLi8ELi9ELi10ELi11EEEElEENS5_IJNSB_INS5_IJSK_SP_SP_NSQ_INS5_IJiS2E_NS2A_IiLi64EEEEEELb0EEES2Y_EEENS5_IJSU_SV_SW_SX_SY_EEENS5_IJS1P_SX_SY_NST_IJLi5ELi6ELi7EEEENST_IJLi8ELi9ELi10EEEEEEENST_IJLi5ELi6ELi7ELi8ELi9ELi10EEEElEEEEES35_NS_31BlockToCTileMap_M00_N00_M01_N01ILi128ELi128ES1Y_Lb0EEENS1_30ComputePtrOffsetOfStridedBatchILi1ELi1ELi1EvEELb0ELb1EEEvPKT0_S3D_T1_PT2_T3_T4_T5_iT6_T7_T8_T9_T10_T11_
                                        ; -- End function
	.set _ZN2ck16tensor_operation6device12_GLOBAL__N_137kernel_grouped_conv_fwd_dl_multiple_dINS_32GridwiseGemmDlMultipleD_km_kn_mnILi256EDF16_fNS_5TupleIJDF16_EEEDF16_NS0_12element_wise11PassThroughES8_NS7_7AddReluELNS_25InMemoryDataOperationEnumE0ENS_16TensorDescriptorINS5_IJNS_5EmbedINS5_IJiiiiiEEESD_Lb0EEENS_11PassThroughIiEENS_3PadIiiiLb0EEESI_SI_SG_SG_NSC_INS5_IJiiEEESJ_Lb0EEESK_SK_SG_NS_23Merge_v2_magic_divisionINS5_IJiiiiEEEEESN_NS_8RightPadIiiLb0EEESP_NS_7UnMergeISJ_Lb0EEESG_EEENS5_IJNS_8SequenceIJLi0EEEENST_IJLi1EEEENST_IJLi2EEEENST_IJLi3EEEENST_IJLi4EEEENST_IJLi5EEEENST_IJLi6EEEENST_IJLi7EEEENST_IJLi8EEEENST_IJLi9EEEENST_IJLi10EEEENST_IJLi11ELi13ELi15ELi17EEEENST_IJLi12ELi14ELi16ELi18EEEENST_IJLi19EEEENST_IJLi20EEEENST_IJLi22EEEENST_IJLi21EEEEEEENS5_IJNST_IJLi1ELi2ELi3ELi4ELi5EEEES10_S11_S12_S13_S14_NST_IJLi11EEEENST_IJLi12ELi13EEEENST_IJLi14ELi15EEEENST_IJLi16ELi17EEEENST_IJLi18EEEES17_S18_S1A_S19_NST_IJLi23ELi24EEEENST_IJLi25EEEEEEENST_IJLi23ELi25ELi24EEEElEENSB_INS5_IJSR_SP_SP_SR_SG_EEENS5_IJSU_SV_SW_SY_SX_EEENS5_IJNST_IJLi1ELi2EEEESX_SY_NST_IJLi5ELi6EEEES11_EEENST_IJLi5ELi7ELi6EEEElEENSB_INS5_IJSK_SP_SP_EEENS5_IJSU_SV_SW_EEENS5_IJS1P_SX_SY_EEENST_IJLi3ELi4EEEElEELi128ELi128ELi16ELi2ELi4ELi4ELi1ENST_IJLi8ELi2EEEES1Z_NST_IJLi8ELi1ELi1ELi2EEEENST_IJLi2ELi1ELi128ELi1EEEENST_IJLi1ELi2ELi0ELi3EEEES22_NST_IJLi4ELi1ELi1ELi2EEEES22_NST_IJLi1ELi1ELi1ELi2EEEES20_S21_S22_S22_S23_S22_S24_NST_IJLi0ELi1ELi2ELi3ELi4ELi5EEEELi5ELi4EEEDF16_NS5_IJPKDF16_EEEDF16_S8_S8_S9_NSB_INS5_IJSE_SG_SI_SI_SI_SG_SG_SK_SK_SK_SG_SN_SN_SP_SP_SR_SG_SG_NSQ_INS5_IJiNS_17integral_constantIiLi128EEEEEELb0EEENSF_INS2A_IiLi2EEEEEEEENS5_IJSU_SV_SW_SX_SY_SZ_S10_S11_S12_S13_S14_S15_S16_S17_S18_S19_S1A_NST_IJLi23EEEES1J_NST_IJLi24EEEEEEENS5_IJS1C_S10_S11_S12_S13_S14_S1D_S1E_S1F_S1G_S1H_S17_S18_S1A_S19_S1I_S1J_NST_IJLi26EEEENST_IJLi27ELi28EEEENST_IJLi29EEEEEEENST_IJLi26ELi27ELi28ELi29EEEElEENSB_INS5_IJSR_SP_SP_SR_SG_SG_S2D_S2F_EEENS5_IJSU_SV_SW_SY_SX_SZ_S11_S10_EEENS5_IJS1P_SX_SY_S1Q_S11_S12_NST_IJLi9ELi10EEEES1D_EEENST_IJLi8ELi9ELi10ELi11EEEElEENS5_IJNSB_INS5_IJSK_SP_SP_NSQ_INS5_IJiS2E_NS2A_IiLi64EEEEEELb0EEES2Y_EEENS5_IJSU_SV_SW_SX_SY_EEENS5_IJS1P_SX_SY_NST_IJLi5ELi6ELi7EEEENST_IJLi8ELi9ELi10EEEEEEENST_IJLi5ELi6ELi7ELi8ELi9ELi10EEEElEEEEES35_NS_31BlockToCTileMap_M00_N00_M01_N01ILi128ELi128ES1Y_Lb0EEENS1_30ComputePtrOffsetOfStridedBatchILi1ELi1ELi1EvEELb0ELb1EEEvPKT0_S3D_T1_PT2_T3_T4_T5_iT6_T7_T8_T9_T10_T11_.num_vgpr, 117
	.set _ZN2ck16tensor_operation6device12_GLOBAL__N_137kernel_grouped_conv_fwd_dl_multiple_dINS_32GridwiseGemmDlMultipleD_km_kn_mnILi256EDF16_fNS_5TupleIJDF16_EEEDF16_NS0_12element_wise11PassThroughES8_NS7_7AddReluELNS_25InMemoryDataOperationEnumE0ENS_16TensorDescriptorINS5_IJNS_5EmbedINS5_IJiiiiiEEESD_Lb0EEENS_11PassThroughIiEENS_3PadIiiiLb0EEESI_SI_SG_SG_NSC_INS5_IJiiEEESJ_Lb0EEESK_SK_SG_NS_23Merge_v2_magic_divisionINS5_IJiiiiEEEEESN_NS_8RightPadIiiLb0EEESP_NS_7UnMergeISJ_Lb0EEESG_EEENS5_IJNS_8SequenceIJLi0EEEENST_IJLi1EEEENST_IJLi2EEEENST_IJLi3EEEENST_IJLi4EEEENST_IJLi5EEEENST_IJLi6EEEENST_IJLi7EEEENST_IJLi8EEEENST_IJLi9EEEENST_IJLi10EEEENST_IJLi11ELi13ELi15ELi17EEEENST_IJLi12ELi14ELi16ELi18EEEENST_IJLi19EEEENST_IJLi20EEEENST_IJLi22EEEENST_IJLi21EEEEEEENS5_IJNST_IJLi1ELi2ELi3ELi4ELi5EEEES10_S11_S12_S13_S14_NST_IJLi11EEEENST_IJLi12ELi13EEEENST_IJLi14ELi15EEEENST_IJLi16ELi17EEEENST_IJLi18EEEES17_S18_S1A_S19_NST_IJLi23ELi24EEEENST_IJLi25EEEEEEENST_IJLi23ELi25ELi24EEEElEENSB_INS5_IJSR_SP_SP_SR_SG_EEENS5_IJSU_SV_SW_SY_SX_EEENS5_IJNST_IJLi1ELi2EEEESX_SY_NST_IJLi5ELi6EEEES11_EEENST_IJLi5ELi7ELi6EEEElEENSB_INS5_IJSK_SP_SP_EEENS5_IJSU_SV_SW_EEENS5_IJS1P_SX_SY_EEENST_IJLi3ELi4EEEElEELi128ELi128ELi16ELi2ELi4ELi4ELi1ENST_IJLi8ELi2EEEES1Z_NST_IJLi8ELi1ELi1ELi2EEEENST_IJLi2ELi1ELi128ELi1EEEENST_IJLi1ELi2ELi0ELi3EEEES22_NST_IJLi4ELi1ELi1ELi2EEEES22_NST_IJLi1ELi1ELi1ELi2EEEES20_S21_S22_S22_S23_S22_S24_NST_IJLi0ELi1ELi2ELi3ELi4ELi5EEEELi5ELi4EEEDF16_NS5_IJPKDF16_EEEDF16_S8_S8_S9_NSB_INS5_IJSE_SG_SI_SI_SI_SG_SG_SK_SK_SK_SG_SN_SN_SP_SP_SR_SG_SG_NSQ_INS5_IJiNS_17integral_constantIiLi128EEEEEELb0EEENSF_INS2A_IiLi2EEEEEEEENS5_IJSU_SV_SW_SX_SY_SZ_S10_S11_S12_S13_S14_S15_S16_S17_S18_S19_S1A_NST_IJLi23EEEES1J_NST_IJLi24EEEEEEENS5_IJS1C_S10_S11_S12_S13_S14_S1D_S1E_S1F_S1G_S1H_S17_S18_S1A_S19_S1I_S1J_NST_IJLi26EEEENST_IJLi27ELi28EEEENST_IJLi29EEEEEEENST_IJLi26ELi27ELi28ELi29EEEElEENSB_INS5_IJSR_SP_SP_SR_SG_SG_S2D_S2F_EEENS5_IJSU_SV_SW_SY_SX_SZ_S11_S10_EEENS5_IJS1P_SX_SY_S1Q_S11_S12_NST_IJLi9ELi10EEEES1D_EEENST_IJLi8ELi9ELi10ELi11EEEElEENS5_IJNSB_INS5_IJSK_SP_SP_NSQ_INS5_IJiS2E_NS2A_IiLi64EEEEEELb0EEES2Y_EEENS5_IJSU_SV_SW_SX_SY_EEENS5_IJS1P_SX_SY_NST_IJLi5ELi6ELi7EEEENST_IJLi8ELi9ELi10EEEEEEENST_IJLi5ELi6ELi7ELi8ELi9ELi10EEEElEEEEES35_NS_31BlockToCTileMap_M00_N00_M01_N01ILi128ELi128ES1Y_Lb0EEENS1_30ComputePtrOffsetOfStridedBatchILi1ELi1ELi1EvEELb0ELb1EEEvPKT0_S3D_T1_PT2_T3_T4_T5_iT6_T7_T8_T9_T10_T11_.num_agpr, 0
	.set _ZN2ck16tensor_operation6device12_GLOBAL__N_137kernel_grouped_conv_fwd_dl_multiple_dINS_32GridwiseGemmDlMultipleD_km_kn_mnILi256EDF16_fNS_5TupleIJDF16_EEEDF16_NS0_12element_wise11PassThroughES8_NS7_7AddReluELNS_25InMemoryDataOperationEnumE0ENS_16TensorDescriptorINS5_IJNS_5EmbedINS5_IJiiiiiEEESD_Lb0EEENS_11PassThroughIiEENS_3PadIiiiLb0EEESI_SI_SG_SG_NSC_INS5_IJiiEEESJ_Lb0EEESK_SK_SG_NS_23Merge_v2_magic_divisionINS5_IJiiiiEEEEESN_NS_8RightPadIiiLb0EEESP_NS_7UnMergeISJ_Lb0EEESG_EEENS5_IJNS_8SequenceIJLi0EEEENST_IJLi1EEEENST_IJLi2EEEENST_IJLi3EEEENST_IJLi4EEEENST_IJLi5EEEENST_IJLi6EEEENST_IJLi7EEEENST_IJLi8EEEENST_IJLi9EEEENST_IJLi10EEEENST_IJLi11ELi13ELi15ELi17EEEENST_IJLi12ELi14ELi16ELi18EEEENST_IJLi19EEEENST_IJLi20EEEENST_IJLi22EEEENST_IJLi21EEEEEEENS5_IJNST_IJLi1ELi2ELi3ELi4ELi5EEEES10_S11_S12_S13_S14_NST_IJLi11EEEENST_IJLi12ELi13EEEENST_IJLi14ELi15EEEENST_IJLi16ELi17EEEENST_IJLi18EEEES17_S18_S1A_S19_NST_IJLi23ELi24EEEENST_IJLi25EEEEEEENST_IJLi23ELi25ELi24EEEElEENSB_INS5_IJSR_SP_SP_SR_SG_EEENS5_IJSU_SV_SW_SY_SX_EEENS5_IJNST_IJLi1ELi2EEEESX_SY_NST_IJLi5ELi6EEEES11_EEENST_IJLi5ELi7ELi6EEEElEENSB_INS5_IJSK_SP_SP_EEENS5_IJSU_SV_SW_EEENS5_IJS1P_SX_SY_EEENST_IJLi3ELi4EEEElEELi128ELi128ELi16ELi2ELi4ELi4ELi1ENST_IJLi8ELi2EEEES1Z_NST_IJLi8ELi1ELi1ELi2EEEENST_IJLi2ELi1ELi128ELi1EEEENST_IJLi1ELi2ELi0ELi3EEEES22_NST_IJLi4ELi1ELi1ELi2EEEES22_NST_IJLi1ELi1ELi1ELi2EEEES20_S21_S22_S22_S23_S22_S24_NST_IJLi0ELi1ELi2ELi3ELi4ELi5EEEELi5ELi4EEEDF16_NS5_IJPKDF16_EEEDF16_S8_S8_S9_NSB_INS5_IJSE_SG_SI_SI_SI_SG_SG_SK_SK_SK_SG_SN_SN_SP_SP_SR_SG_SG_NSQ_INS5_IJiNS_17integral_constantIiLi128EEEEEELb0EEENSF_INS2A_IiLi2EEEEEEEENS5_IJSU_SV_SW_SX_SY_SZ_S10_S11_S12_S13_S14_S15_S16_S17_S18_S19_S1A_NST_IJLi23EEEES1J_NST_IJLi24EEEEEEENS5_IJS1C_S10_S11_S12_S13_S14_S1D_S1E_S1F_S1G_S1H_S17_S18_S1A_S19_S1I_S1J_NST_IJLi26EEEENST_IJLi27ELi28EEEENST_IJLi29EEEEEEENST_IJLi26ELi27ELi28ELi29EEEElEENSB_INS5_IJSR_SP_SP_SR_SG_SG_S2D_S2F_EEENS5_IJSU_SV_SW_SY_SX_SZ_S11_S10_EEENS5_IJS1P_SX_SY_S1Q_S11_S12_NST_IJLi9ELi10EEEES1D_EEENST_IJLi8ELi9ELi10ELi11EEEElEENS5_IJNSB_INS5_IJSK_SP_SP_NSQ_INS5_IJiS2E_NS2A_IiLi64EEEEEELb0EEES2Y_EEENS5_IJSU_SV_SW_SX_SY_EEENS5_IJS1P_SX_SY_NST_IJLi5ELi6ELi7EEEENST_IJLi8ELi9ELi10EEEEEEENST_IJLi5ELi6ELi7ELi8ELi9ELi10EEEElEEEEES35_NS_31BlockToCTileMap_M00_N00_M01_N01ILi128ELi128ES1Y_Lb0EEENS1_30ComputePtrOffsetOfStridedBatchILi1ELi1ELi1EvEELb0ELb1EEEvPKT0_S3D_T1_PT2_T3_T4_T5_iT6_T7_T8_T9_T10_T11_.numbered_sgpr, 83
	.set _ZN2ck16tensor_operation6device12_GLOBAL__N_137kernel_grouped_conv_fwd_dl_multiple_dINS_32GridwiseGemmDlMultipleD_km_kn_mnILi256EDF16_fNS_5TupleIJDF16_EEEDF16_NS0_12element_wise11PassThroughES8_NS7_7AddReluELNS_25InMemoryDataOperationEnumE0ENS_16TensorDescriptorINS5_IJNS_5EmbedINS5_IJiiiiiEEESD_Lb0EEENS_11PassThroughIiEENS_3PadIiiiLb0EEESI_SI_SG_SG_NSC_INS5_IJiiEEESJ_Lb0EEESK_SK_SG_NS_23Merge_v2_magic_divisionINS5_IJiiiiEEEEESN_NS_8RightPadIiiLb0EEESP_NS_7UnMergeISJ_Lb0EEESG_EEENS5_IJNS_8SequenceIJLi0EEEENST_IJLi1EEEENST_IJLi2EEEENST_IJLi3EEEENST_IJLi4EEEENST_IJLi5EEEENST_IJLi6EEEENST_IJLi7EEEENST_IJLi8EEEENST_IJLi9EEEENST_IJLi10EEEENST_IJLi11ELi13ELi15ELi17EEEENST_IJLi12ELi14ELi16ELi18EEEENST_IJLi19EEEENST_IJLi20EEEENST_IJLi22EEEENST_IJLi21EEEEEEENS5_IJNST_IJLi1ELi2ELi3ELi4ELi5EEEES10_S11_S12_S13_S14_NST_IJLi11EEEENST_IJLi12ELi13EEEENST_IJLi14ELi15EEEENST_IJLi16ELi17EEEENST_IJLi18EEEES17_S18_S1A_S19_NST_IJLi23ELi24EEEENST_IJLi25EEEEEEENST_IJLi23ELi25ELi24EEEElEENSB_INS5_IJSR_SP_SP_SR_SG_EEENS5_IJSU_SV_SW_SY_SX_EEENS5_IJNST_IJLi1ELi2EEEESX_SY_NST_IJLi5ELi6EEEES11_EEENST_IJLi5ELi7ELi6EEEElEENSB_INS5_IJSK_SP_SP_EEENS5_IJSU_SV_SW_EEENS5_IJS1P_SX_SY_EEENST_IJLi3ELi4EEEElEELi128ELi128ELi16ELi2ELi4ELi4ELi1ENST_IJLi8ELi2EEEES1Z_NST_IJLi8ELi1ELi1ELi2EEEENST_IJLi2ELi1ELi128ELi1EEEENST_IJLi1ELi2ELi0ELi3EEEES22_NST_IJLi4ELi1ELi1ELi2EEEES22_NST_IJLi1ELi1ELi1ELi2EEEES20_S21_S22_S22_S23_S22_S24_NST_IJLi0ELi1ELi2ELi3ELi4ELi5EEEELi5ELi4EEEDF16_NS5_IJPKDF16_EEEDF16_S8_S8_S9_NSB_INS5_IJSE_SG_SI_SI_SI_SG_SG_SK_SK_SK_SG_SN_SN_SP_SP_SR_SG_SG_NSQ_INS5_IJiNS_17integral_constantIiLi128EEEEEELb0EEENSF_INS2A_IiLi2EEEEEEEENS5_IJSU_SV_SW_SX_SY_SZ_S10_S11_S12_S13_S14_S15_S16_S17_S18_S19_S1A_NST_IJLi23EEEES1J_NST_IJLi24EEEEEEENS5_IJS1C_S10_S11_S12_S13_S14_S1D_S1E_S1F_S1G_S1H_S17_S18_S1A_S19_S1I_S1J_NST_IJLi26EEEENST_IJLi27ELi28EEEENST_IJLi29EEEEEEENST_IJLi26ELi27ELi28ELi29EEEElEENSB_INS5_IJSR_SP_SP_SR_SG_SG_S2D_S2F_EEENS5_IJSU_SV_SW_SY_SX_SZ_S11_S10_EEENS5_IJS1P_SX_SY_S1Q_S11_S12_NST_IJLi9ELi10EEEES1D_EEENST_IJLi8ELi9ELi10ELi11EEEElEENS5_IJNSB_INS5_IJSK_SP_SP_NSQ_INS5_IJiS2E_NS2A_IiLi64EEEEEELb0EEES2Y_EEENS5_IJSU_SV_SW_SX_SY_EEENS5_IJS1P_SX_SY_NST_IJLi5ELi6ELi7EEEENST_IJLi8ELi9ELi10EEEEEEENST_IJLi5ELi6ELi7ELi8ELi9ELi10EEEElEEEEES35_NS_31BlockToCTileMap_M00_N00_M01_N01ILi128ELi128ES1Y_Lb0EEENS1_30ComputePtrOffsetOfStridedBatchILi1ELi1ELi1EvEELb0ELb1EEEvPKT0_S3D_T1_PT2_T3_T4_T5_iT6_T7_T8_T9_T10_T11_.num_named_barrier, 0
	.set _ZN2ck16tensor_operation6device12_GLOBAL__N_137kernel_grouped_conv_fwd_dl_multiple_dINS_32GridwiseGemmDlMultipleD_km_kn_mnILi256EDF16_fNS_5TupleIJDF16_EEEDF16_NS0_12element_wise11PassThroughES8_NS7_7AddReluELNS_25InMemoryDataOperationEnumE0ENS_16TensorDescriptorINS5_IJNS_5EmbedINS5_IJiiiiiEEESD_Lb0EEENS_11PassThroughIiEENS_3PadIiiiLb0EEESI_SI_SG_SG_NSC_INS5_IJiiEEESJ_Lb0EEESK_SK_SG_NS_23Merge_v2_magic_divisionINS5_IJiiiiEEEEESN_NS_8RightPadIiiLb0EEESP_NS_7UnMergeISJ_Lb0EEESG_EEENS5_IJNS_8SequenceIJLi0EEEENST_IJLi1EEEENST_IJLi2EEEENST_IJLi3EEEENST_IJLi4EEEENST_IJLi5EEEENST_IJLi6EEEENST_IJLi7EEEENST_IJLi8EEEENST_IJLi9EEEENST_IJLi10EEEENST_IJLi11ELi13ELi15ELi17EEEENST_IJLi12ELi14ELi16ELi18EEEENST_IJLi19EEEENST_IJLi20EEEENST_IJLi22EEEENST_IJLi21EEEEEEENS5_IJNST_IJLi1ELi2ELi3ELi4ELi5EEEES10_S11_S12_S13_S14_NST_IJLi11EEEENST_IJLi12ELi13EEEENST_IJLi14ELi15EEEENST_IJLi16ELi17EEEENST_IJLi18EEEES17_S18_S1A_S19_NST_IJLi23ELi24EEEENST_IJLi25EEEEEEENST_IJLi23ELi25ELi24EEEElEENSB_INS5_IJSR_SP_SP_SR_SG_EEENS5_IJSU_SV_SW_SY_SX_EEENS5_IJNST_IJLi1ELi2EEEESX_SY_NST_IJLi5ELi6EEEES11_EEENST_IJLi5ELi7ELi6EEEElEENSB_INS5_IJSK_SP_SP_EEENS5_IJSU_SV_SW_EEENS5_IJS1P_SX_SY_EEENST_IJLi3ELi4EEEElEELi128ELi128ELi16ELi2ELi4ELi4ELi1ENST_IJLi8ELi2EEEES1Z_NST_IJLi8ELi1ELi1ELi2EEEENST_IJLi2ELi1ELi128ELi1EEEENST_IJLi1ELi2ELi0ELi3EEEES22_NST_IJLi4ELi1ELi1ELi2EEEES22_NST_IJLi1ELi1ELi1ELi2EEEES20_S21_S22_S22_S23_S22_S24_NST_IJLi0ELi1ELi2ELi3ELi4ELi5EEEELi5ELi4EEEDF16_NS5_IJPKDF16_EEEDF16_S8_S8_S9_NSB_INS5_IJSE_SG_SI_SI_SI_SG_SG_SK_SK_SK_SG_SN_SN_SP_SP_SR_SG_SG_NSQ_INS5_IJiNS_17integral_constantIiLi128EEEEEELb0EEENSF_INS2A_IiLi2EEEEEEEENS5_IJSU_SV_SW_SX_SY_SZ_S10_S11_S12_S13_S14_S15_S16_S17_S18_S19_S1A_NST_IJLi23EEEES1J_NST_IJLi24EEEEEEENS5_IJS1C_S10_S11_S12_S13_S14_S1D_S1E_S1F_S1G_S1H_S17_S18_S1A_S19_S1I_S1J_NST_IJLi26EEEENST_IJLi27ELi28EEEENST_IJLi29EEEEEEENST_IJLi26ELi27ELi28ELi29EEEElEENSB_INS5_IJSR_SP_SP_SR_SG_SG_S2D_S2F_EEENS5_IJSU_SV_SW_SY_SX_SZ_S11_S10_EEENS5_IJS1P_SX_SY_S1Q_S11_S12_NST_IJLi9ELi10EEEES1D_EEENST_IJLi8ELi9ELi10ELi11EEEElEENS5_IJNSB_INS5_IJSK_SP_SP_NSQ_INS5_IJiS2E_NS2A_IiLi64EEEEEELb0EEES2Y_EEENS5_IJSU_SV_SW_SX_SY_EEENS5_IJS1P_SX_SY_NST_IJLi5ELi6ELi7EEEENST_IJLi8ELi9ELi10EEEEEEENST_IJLi5ELi6ELi7ELi8ELi9ELi10EEEElEEEEES35_NS_31BlockToCTileMap_M00_N00_M01_N01ILi128ELi128ES1Y_Lb0EEENS1_30ComputePtrOffsetOfStridedBatchILi1ELi1ELi1EvEELb0ELb1EEEvPKT0_S3D_T1_PT2_T3_T4_T5_iT6_T7_T8_T9_T10_T11_.private_seg_size, 0
	.set _ZN2ck16tensor_operation6device12_GLOBAL__N_137kernel_grouped_conv_fwd_dl_multiple_dINS_32GridwiseGemmDlMultipleD_km_kn_mnILi256EDF16_fNS_5TupleIJDF16_EEEDF16_NS0_12element_wise11PassThroughES8_NS7_7AddReluELNS_25InMemoryDataOperationEnumE0ENS_16TensorDescriptorINS5_IJNS_5EmbedINS5_IJiiiiiEEESD_Lb0EEENS_11PassThroughIiEENS_3PadIiiiLb0EEESI_SI_SG_SG_NSC_INS5_IJiiEEESJ_Lb0EEESK_SK_SG_NS_23Merge_v2_magic_divisionINS5_IJiiiiEEEEESN_NS_8RightPadIiiLb0EEESP_NS_7UnMergeISJ_Lb0EEESG_EEENS5_IJNS_8SequenceIJLi0EEEENST_IJLi1EEEENST_IJLi2EEEENST_IJLi3EEEENST_IJLi4EEEENST_IJLi5EEEENST_IJLi6EEEENST_IJLi7EEEENST_IJLi8EEEENST_IJLi9EEEENST_IJLi10EEEENST_IJLi11ELi13ELi15ELi17EEEENST_IJLi12ELi14ELi16ELi18EEEENST_IJLi19EEEENST_IJLi20EEEENST_IJLi22EEEENST_IJLi21EEEEEEENS5_IJNST_IJLi1ELi2ELi3ELi4ELi5EEEES10_S11_S12_S13_S14_NST_IJLi11EEEENST_IJLi12ELi13EEEENST_IJLi14ELi15EEEENST_IJLi16ELi17EEEENST_IJLi18EEEES17_S18_S1A_S19_NST_IJLi23ELi24EEEENST_IJLi25EEEEEEENST_IJLi23ELi25ELi24EEEElEENSB_INS5_IJSR_SP_SP_SR_SG_EEENS5_IJSU_SV_SW_SY_SX_EEENS5_IJNST_IJLi1ELi2EEEESX_SY_NST_IJLi5ELi6EEEES11_EEENST_IJLi5ELi7ELi6EEEElEENSB_INS5_IJSK_SP_SP_EEENS5_IJSU_SV_SW_EEENS5_IJS1P_SX_SY_EEENST_IJLi3ELi4EEEElEELi128ELi128ELi16ELi2ELi4ELi4ELi1ENST_IJLi8ELi2EEEES1Z_NST_IJLi8ELi1ELi1ELi2EEEENST_IJLi2ELi1ELi128ELi1EEEENST_IJLi1ELi2ELi0ELi3EEEES22_NST_IJLi4ELi1ELi1ELi2EEEES22_NST_IJLi1ELi1ELi1ELi2EEEES20_S21_S22_S22_S23_S22_S24_NST_IJLi0ELi1ELi2ELi3ELi4ELi5EEEELi5ELi4EEEDF16_NS5_IJPKDF16_EEEDF16_S8_S8_S9_NSB_INS5_IJSE_SG_SI_SI_SI_SG_SG_SK_SK_SK_SG_SN_SN_SP_SP_SR_SG_SG_NSQ_INS5_IJiNS_17integral_constantIiLi128EEEEEELb0EEENSF_INS2A_IiLi2EEEEEEEENS5_IJSU_SV_SW_SX_SY_SZ_S10_S11_S12_S13_S14_S15_S16_S17_S18_S19_S1A_NST_IJLi23EEEES1J_NST_IJLi24EEEEEEENS5_IJS1C_S10_S11_S12_S13_S14_S1D_S1E_S1F_S1G_S1H_S17_S18_S1A_S19_S1I_S1J_NST_IJLi26EEEENST_IJLi27ELi28EEEENST_IJLi29EEEEEEENST_IJLi26ELi27ELi28ELi29EEEElEENSB_INS5_IJSR_SP_SP_SR_SG_SG_S2D_S2F_EEENS5_IJSU_SV_SW_SY_SX_SZ_S11_S10_EEENS5_IJS1P_SX_SY_S1Q_S11_S12_NST_IJLi9ELi10EEEES1D_EEENST_IJLi8ELi9ELi10ELi11EEEElEENS5_IJNSB_INS5_IJSK_SP_SP_NSQ_INS5_IJiS2E_NS2A_IiLi64EEEEEELb0EEES2Y_EEENS5_IJSU_SV_SW_SX_SY_EEENS5_IJS1P_SX_SY_NST_IJLi5ELi6ELi7EEEENST_IJLi8ELi9ELi10EEEEEEENST_IJLi5ELi6ELi7ELi8ELi9ELi10EEEElEEEEES35_NS_31BlockToCTileMap_M00_N00_M01_N01ILi128ELi128ES1Y_Lb0EEENS1_30ComputePtrOffsetOfStridedBatchILi1ELi1ELi1EvEELb0ELb1EEEvPKT0_S3D_T1_PT2_T3_T4_T5_iT6_T7_T8_T9_T10_T11_.uses_vcc, 1
	.set _ZN2ck16tensor_operation6device12_GLOBAL__N_137kernel_grouped_conv_fwd_dl_multiple_dINS_32GridwiseGemmDlMultipleD_km_kn_mnILi256EDF16_fNS_5TupleIJDF16_EEEDF16_NS0_12element_wise11PassThroughES8_NS7_7AddReluELNS_25InMemoryDataOperationEnumE0ENS_16TensorDescriptorINS5_IJNS_5EmbedINS5_IJiiiiiEEESD_Lb0EEENS_11PassThroughIiEENS_3PadIiiiLb0EEESI_SI_SG_SG_NSC_INS5_IJiiEEESJ_Lb0EEESK_SK_SG_NS_23Merge_v2_magic_divisionINS5_IJiiiiEEEEESN_NS_8RightPadIiiLb0EEESP_NS_7UnMergeISJ_Lb0EEESG_EEENS5_IJNS_8SequenceIJLi0EEEENST_IJLi1EEEENST_IJLi2EEEENST_IJLi3EEEENST_IJLi4EEEENST_IJLi5EEEENST_IJLi6EEEENST_IJLi7EEEENST_IJLi8EEEENST_IJLi9EEEENST_IJLi10EEEENST_IJLi11ELi13ELi15ELi17EEEENST_IJLi12ELi14ELi16ELi18EEEENST_IJLi19EEEENST_IJLi20EEEENST_IJLi22EEEENST_IJLi21EEEEEEENS5_IJNST_IJLi1ELi2ELi3ELi4ELi5EEEES10_S11_S12_S13_S14_NST_IJLi11EEEENST_IJLi12ELi13EEEENST_IJLi14ELi15EEEENST_IJLi16ELi17EEEENST_IJLi18EEEES17_S18_S1A_S19_NST_IJLi23ELi24EEEENST_IJLi25EEEEEEENST_IJLi23ELi25ELi24EEEElEENSB_INS5_IJSR_SP_SP_SR_SG_EEENS5_IJSU_SV_SW_SY_SX_EEENS5_IJNST_IJLi1ELi2EEEESX_SY_NST_IJLi5ELi6EEEES11_EEENST_IJLi5ELi7ELi6EEEElEENSB_INS5_IJSK_SP_SP_EEENS5_IJSU_SV_SW_EEENS5_IJS1P_SX_SY_EEENST_IJLi3ELi4EEEElEELi128ELi128ELi16ELi2ELi4ELi4ELi1ENST_IJLi8ELi2EEEES1Z_NST_IJLi8ELi1ELi1ELi2EEEENST_IJLi2ELi1ELi128ELi1EEEENST_IJLi1ELi2ELi0ELi3EEEES22_NST_IJLi4ELi1ELi1ELi2EEEES22_NST_IJLi1ELi1ELi1ELi2EEEES20_S21_S22_S22_S23_S22_S24_NST_IJLi0ELi1ELi2ELi3ELi4ELi5EEEELi5ELi4EEEDF16_NS5_IJPKDF16_EEEDF16_S8_S8_S9_NSB_INS5_IJSE_SG_SI_SI_SI_SG_SG_SK_SK_SK_SG_SN_SN_SP_SP_SR_SG_SG_NSQ_INS5_IJiNS_17integral_constantIiLi128EEEEEELb0EEENSF_INS2A_IiLi2EEEEEEEENS5_IJSU_SV_SW_SX_SY_SZ_S10_S11_S12_S13_S14_S15_S16_S17_S18_S19_S1A_NST_IJLi23EEEES1J_NST_IJLi24EEEEEEENS5_IJS1C_S10_S11_S12_S13_S14_S1D_S1E_S1F_S1G_S1H_S17_S18_S1A_S19_S1I_S1J_NST_IJLi26EEEENST_IJLi27ELi28EEEENST_IJLi29EEEEEEENST_IJLi26ELi27ELi28ELi29EEEElEENSB_INS5_IJSR_SP_SP_SR_SG_SG_S2D_S2F_EEENS5_IJSU_SV_SW_SY_SX_SZ_S11_S10_EEENS5_IJS1P_SX_SY_S1Q_S11_S12_NST_IJLi9ELi10EEEES1D_EEENST_IJLi8ELi9ELi10ELi11EEEElEENS5_IJNSB_INS5_IJSK_SP_SP_NSQ_INS5_IJiS2E_NS2A_IiLi64EEEEEELb0EEES2Y_EEENS5_IJSU_SV_SW_SX_SY_EEENS5_IJS1P_SX_SY_NST_IJLi5ELi6ELi7EEEENST_IJLi8ELi9ELi10EEEEEEENST_IJLi5ELi6ELi7ELi8ELi9ELi10EEEElEEEEES35_NS_31BlockToCTileMap_M00_N00_M01_N01ILi128ELi128ES1Y_Lb0EEENS1_30ComputePtrOffsetOfStridedBatchILi1ELi1ELi1EvEELb0ELb1EEEvPKT0_S3D_T1_PT2_T3_T4_T5_iT6_T7_T8_T9_T10_T11_.uses_flat_scratch, 0
	.set _ZN2ck16tensor_operation6device12_GLOBAL__N_137kernel_grouped_conv_fwd_dl_multiple_dINS_32GridwiseGemmDlMultipleD_km_kn_mnILi256EDF16_fNS_5TupleIJDF16_EEEDF16_NS0_12element_wise11PassThroughES8_NS7_7AddReluELNS_25InMemoryDataOperationEnumE0ENS_16TensorDescriptorINS5_IJNS_5EmbedINS5_IJiiiiiEEESD_Lb0EEENS_11PassThroughIiEENS_3PadIiiiLb0EEESI_SI_SG_SG_NSC_INS5_IJiiEEESJ_Lb0EEESK_SK_SG_NS_23Merge_v2_magic_divisionINS5_IJiiiiEEEEESN_NS_8RightPadIiiLb0EEESP_NS_7UnMergeISJ_Lb0EEESG_EEENS5_IJNS_8SequenceIJLi0EEEENST_IJLi1EEEENST_IJLi2EEEENST_IJLi3EEEENST_IJLi4EEEENST_IJLi5EEEENST_IJLi6EEEENST_IJLi7EEEENST_IJLi8EEEENST_IJLi9EEEENST_IJLi10EEEENST_IJLi11ELi13ELi15ELi17EEEENST_IJLi12ELi14ELi16ELi18EEEENST_IJLi19EEEENST_IJLi20EEEENST_IJLi22EEEENST_IJLi21EEEEEEENS5_IJNST_IJLi1ELi2ELi3ELi4ELi5EEEES10_S11_S12_S13_S14_NST_IJLi11EEEENST_IJLi12ELi13EEEENST_IJLi14ELi15EEEENST_IJLi16ELi17EEEENST_IJLi18EEEES17_S18_S1A_S19_NST_IJLi23ELi24EEEENST_IJLi25EEEEEEENST_IJLi23ELi25ELi24EEEElEENSB_INS5_IJSR_SP_SP_SR_SG_EEENS5_IJSU_SV_SW_SY_SX_EEENS5_IJNST_IJLi1ELi2EEEESX_SY_NST_IJLi5ELi6EEEES11_EEENST_IJLi5ELi7ELi6EEEElEENSB_INS5_IJSK_SP_SP_EEENS5_IJSU_SV_SW_EEENS5_IJS1P_SX_SY_EEENST_IJLi3ELi4EEEElEELi128ELi128ELi16ELi2ELi4ELi4ELi1ENST_IJLi8ELi2EEEES1Z_NST_IJLi8ELi1ELi1ELi2EEEENST_IJLi2ELi1ELi128ELi1EEEENST_IJLi1ELi2ELi0ELi3EEEES22_NST_IJLi4ELi1ELi1ELi2EEEES22_NST_IJLi1ELi1ELi1ELi2EEEES20_S21_S22_S22_S23_S22_S24_NST_IJLi0ELi1ELi2ELi3ELi4ELi5EEEELi5ELi4EEEDF16_NS5_IJPKDF16_EEEDF16_S8_S8_S9_NSB_INS5_IJSE_SG_SI_SI_SI_SG_SG_SK_SK_SK_SG_SN_SN_SP_SP_SR_SG_SG_NSQ_INS5_IJiNS_17integral_constantIiLi128EEEEEELb0EEENSF_INS2A_IiLi2EEEEEEEENS5_IJSU_SV_SW_SX_SY_SZ_S10_S11_S12_S13_S14_S15_S16_S17_S18_S19_S1A_NST_IJLi23EEEES1J_NST_IJLi24EEEEEEENS5_IJS1C_S10_S11_S12_S13_S14_S1D_S1E_S1F_S1G_S1H_S17_S18_S1A_S19_S1I_S1J_NST_IJLi26EEEENST_IJLi27ELi28EEEENST_IJLi29EEEEEEENST_IJLi26ELi27ELi28ELi29EEEElEENSB_INS5_IJSR_SP_SP_SR_SG_SG_S2D_S2F_EEENS5_IJSU_SV_SW_SY_SX_SZ_S11_S10_EEENS5_IJS1P_SX_SY_S1Q_S11_S12_NST_IJLi9ELi10EEEES1D_EEENST_IJLi8ELi9ELi10ELi11EEEElEENS5_IJNSB_INS5_IJSK_SP_SP_NSQ_INS5_IJiS2E_NS2A_IiLi64EEEEEELb0EEES2Y_EEENS5_IJSU_SV_SW_SX_SY_EEENS5_IJS1P_SX_SY_NST_IJLi5ELi6ELi7EEEENST_IJLi8ELi9ELi10EEEEEEENST_IJLi5ELi6ELi7ELi8ELi9ELi10EEEElEEEEES35_NS_31BlockToCTileMap_M00_N00_M01_N01ILi128ELi128ES1Y_Lb0EEENS1_30ComputePtrOffsetOfStridedBatchILi1ELi1ELi1EvEELb0ELb1EEEvPKT0_S3D_T1_PT2_T3_T4_T5_iT6_T7_T8_T9_T10_T11_.has_dyn_sized_stack, 0
	.set _ZN2ck16tensor_operation6device12_GLOBAL__N_137kernel_grouped_conv_fwd_dl_multiple_dINS_32GridwiseGemmDlMultipleD_km_kn_mnILi256EDF16_fNS_5TupleIJDF16_EEEDF16_NS0_12element_wise11PassThroughES8_NS7_7AddReluELNS_25InMemoryDataOperationEnumE0ENS_16TensorDescriptorINS5_IJNS_5EmbedINS5_IJiiiiiEEESD_Lb0EEENS_11PassThroughIiEENS_3PadIiiiLb0EEESI_SI_SG_SG_NSC_INS5_IJiiEEESJ_Lb0EEESK_SK_SG_NS_23Merge_v2_magic_divisionINS5_IJiiiiEEEEESN_NS_8RightPadIiiLb0EEESP_NS_7UnMergeISJ_Lb0EEESG_EEENS5_IJNS_8SequenceIJLi0EEEENST_IJLi1EEEENST_IJLi2EEEENST_IJLi3EEEENST_IJLi4EEEENST_IJLi5EEEENST_IJLi6EEEENST_IJLi7EEEENST_IJLi8EEEENST_IJLi9EEEENST_IJLi10EEEENST_IJLi11ELi13ELi15ELi17EEEENST_IJLi12ELi14ELi16ELi18EEEENST_IJLi19EEEENST_IJLi20EEEENST_IJLi22EEEENST_IJLi21EEEEEEENS5_IJNST_IJLi1ELi2ELi3ELi4ELi5EEEES10_S11_S12_S13_S14_NST_IJLi11EEEENST_IJLi12ELi13EEEENST_IJLi14ELi15EEEENST_IJLi16ELi17EEEENST_IJLi18EEEES17_S18_S1A_S19_NST_IJLi23ELi24EEEENST_IJLi25EEEEEEENST_IJLi23ELi25ELi24EEEElEENSB_INS5_IJSR_SP_SP_SR_SG_EEENS5_IJSU_SV_SW_SY_SX_EEENS5_IJNST_IJLi1ELi2EEEESX_SY_NST_IJLi5ELi6EEEES11_EEENST_IJLi5ELi7ELi6EEEElEENSB_INS5_IJSK_SP_SP_EEENS5_IJSU_SV_SW_EEENS5_IJS1P_SX_SY_EEENST_IJLi3ELi4EEEElEELi128ELi128ELi16ELi2ELi4ELi4ELi1ENST_IJLi8ELi2EEEES1Z_NST_IJLi8ELi1ELi1ELi2EEEENST_IJLi2ELi1ELi128ELi1EEEENST_IJLi1ELi2ELi0ELi3EEEES22_NST_IJLi4ELi1ELi1ELi2EEEES22_NST_IJLi1ELi1ELi1ELi2EEEES20_S21_S22_S22_S23_S22_S24_NST_IJLi0ELi1ELi2ELi3ELi4ELi5EEEELi5ELi4EEEDF16_NS5_IJPKDF16_EEEDF16_S8_S8_S9_NSB_INS5_IJSE_SG_SI_SI_SI_SG_SG_SK_SK_SK_SG_SN_SN_SP_SP_SR_SG_SG_NSQ_INS5_IJiNS_17integral_constantIiLi128EEEEEELb0EEENSF_INS2A_IiLi2EEEEEEEENS5_IJSU_SV_SW_SX_SY_SZ_S10_S11_S12_S13_S14_S15_S16_S17_S18_S19_S1A_NST_IJLi23EEEES1J_NST_IJLi24EEEEEEENS5_IJS1C_S10_S11_S12_S13_S14_S1D_S1E_S1F_S1G_S1H_S17_S18_S1A_S19_S1I_S1J_NST_IJLi26EEEENST_IJLi27ELi28EEEENST_IJLi29EEEEEEENST_IJLi26ELi27ELi28ELi29EEEElEENSB_INS5_IJSR_SP_SP_SR_SG_SG_S2D_S2F_EEENS5_IJSU_SV_SW_SY_SX_SZ_S11_S10_EEENS5_IJS1P_SX_SY_S1Q_S11_S12_NST_IJLi9ELi10EEEES1D_EEENST_IJLi8ELi9ELi10ELi11EEEElEENS5_IJNSB_INS5_IJSK_SP_SP_NSQ_INS5_IJiS2E_NS2A_IiLi64EEEEEELb0EEES2Y_EEENS5_IJSU_SV_SW_SX_SY_EEENS5_IJS1P_SX_SY_NST_IJLi5ELi6ELi7EEEENST_IJLi8ELi9ELi10EEEEEEENST_IJLi5ELi6ELi7ELi8ELi9ELi10EEEElEEEEES35_NS_31BlockToCTileMap_M00_N00_M01_N01ILi128ELi128ES1Y_Lb0EEENS1_30ComputePtrOffsetOfStridedBatchILi1ELi1ELi1EvEELb0ELb1EEEvPKT0_S3D_T1_PT2_T3_T4_T5_iT6_T7_T8_T9_T10_T11_.has_recursion, 0
	.set _ZN2ck16tensor_operation6device12_GLOBAL__N_137kernel_grouped_conv_fwd_dl_multiple_dINS_32GridwiseGemmDlMultipleD_km_kn_mnILi256EDF16_fNS_5TupleIJDF16_EEEDF16_NS0_12element_wise11PassThroughES8_NS7_7AddReluELNS_25InMemoryDataOperationEnumE0ENS_16TensorDescriptorINS5_IJNS_5EmbedINS5_IJiiiiiEEESD_Lb0EEENS_11PassThroughIiEENS_3PadIiiiLb0EEESI_SI_SG_SG_NSC_INS5_IJiiEEESJ_Lb0EEESK_SK_SG_NS_23Merge_v2_magic_divisionINS5_IJiiiiEEEEESN_NS_8RightPadIiiLb0EEESP_NS_7UnMergeISJ_Lb0EEESG_EEENS5_IJNS_8SequenceIJLi0EEEENST_IJLi1EEEENST_IJLi2EEEENST_IJLi3EEEENST_IJLi4EEEENST_IJLi5EEEENST_IJLi6EEEENST_IJLi7EEEENST_IJLi8EEEENST_IJLi9EEEENST_IJLi10EEEENST_IJLi11ELi13ELi15ELi17EEEENST_IJLi12ELi14ELi16ELi18EEEENST_IJLi19EEEENST_IJLi20EEEENST_IJLi22EEEENST_IJLi21EEEEEEENS5_IJNST_IJLi1ELi2ELi3ELi4ELi5EEEES10_S11_S12_S13_S14_NST_IJLi11EEEENST_IJLi12ELi13EEEENST_IJLi14ELi15EEEENST_IJLi16ELi17EEEENST_IJLi18EEEES17_S18_S1A_S19_NST_IJLi23ELi24EEEENST_IJLi25EEEEEEENST_IJLi23ELi25ELi24EEEElEENSB_INS5_IJSR_SP_SP_SR_SG_EEENS5_IJSU_SV_SW_SY_SX_EEENS5_IJNST_IJLi1ELi2EEEESX_SY_NST_IJLi5ELi6EEEES11_EEENST_IJLi5ELi7ELi6EEEElEENSB_INS5_IJSK_SP_SP_EEENS5_IJSU_SV_SW_EEENS5_IJS1P_SX_SY_EEENST_IJLi3ELi4EEEElEELi128ELi128ELi16ELi2ELi4ELi4ELi1ENST_IJLi8ELi2EEEES1Z_NST_IJLi8ELi1ELi1ELi2EEEENST_IJLi2ELi1ELi128ELi1EEEENST_IJLi1ELi2ELi0ELi3EEEES22_NST_IJLi4ELi1ELi1ELi2EEEES22_NST_IJLi1ELi1ELi1ELi2EEEES20_S21_S22_S22_S23_S22_S24_NST_IJLi0ELi1ELi2ELi3ELi4ELi5EEEELi5ELi4EEEDF16_NS5_IJPKDF16_EEEDF16_S8_S8_S9_NSB_INS5_IJSE_SG_SI_SI_SI_SG_SG_SK_SK_SK_SG_SN_SN_SP_SP_SR_SG_SG_NSQ_INS5_IJiNS_17integral_constantIiLi128EEEEEELb0EEENSF_INS2A_IiLi2EEEEEEEENS5_IJSU_SV_SW_SX_SY_SZ_S10_S11_S12_S13_S14_S15_S16_S17_S18_S19_S1A_NST_IJLi23EEEES1J_NST_IJLi24EEEEEEENS5_IJS1C_S10_S11_S12_S13_S14_S1D_S1E_S1F_S1G_S1H_S17_S18_S1A_S19_S1I_S1J_NST_IJLi26EEEENST_IJLi27ELi28EEEENST_IJLi29EEEEEEENST_IJLi26ELi27ELi28ELi29EEEElEENSB_INS5_IJSR_SP_SP_SR_SG_SG_S2D_S2F_EEENS5_IJSU_SV_SW_SY_SX_SZ_S11_S10_EEENS5_IJS1P_SX_SY_S1Q_S11_S12_NST_IJLi9ELi10EEEES1D_EEENST_IJLi8ELi9ELi10ELi11EEEElEENS5_IJNSB_INS5_IJSK_SP_SP_NSQ_INS5_IJiS2E_NS2A_IiLi64EEEEEELb0EEES2Y_EEENS5_IJSU_SV_SW_SX_SY_EEENS5_IJS1P_SX_SY_NST_IJLi5ELi6ELi7EEEENST_IJLi8ELi9ELi10EEEEEEENST_IJLi5ELi6ELi7ELi8ELi9ELi10EEEElEEEEES35_NS_31BlockToCTileMap_M00_N00_M01_N01ILi128ELi128ES1Y_Lb0EEENS1_30ComputePtrOffsetOfStridedBatchILi1ELi1ELi1EvEELb0ELb1EEEvPKT0_S3D_T1_PT2_T3_T4_T5_iT6_T7_T8_T9_T10_T11_.has_indirect_call, 0
	.section	.AMDGPU.csdata,"",@progbits
; Kernel info:
; codeLenInByte = 15140
; TotalNumSgprs: 89
; NumVgprs: 117
; NumAgprs: 0
; TotalNumVgprs: 117
; ScratchSize: 0
; MemoryBound: 0
; FloatMode: 240
; IeeeMode: 1
; LDSByteSize: 32768 bytes/workgroup (compile time only)
; SGPRBlocks: 12
; VGPRBlocks: 14
; NumSGPRsForWavesPerEU: 102
; NumVGPRsForWavesPerEU: 117
; AccumOffset: 120
; Occupancy: 4
; WaveLimiterHint : 1
; COMPUTE_PGM_RSRC2:SCRATCH_EN: 0
; COMPUTE_PGM_RSRC2:USER_SGPR: 2
; COMPUTE_PGM_RSRC2:TRAP_HANDLER: 0
; COMPUTE_PGM_RSRC2:TGID_X_EN: 1
; COMPUTE_PGM_RSRC2:TGID_Y_EN: 0
; COMPUTE_PGM_RSRC2:TGID_Z_EN: 0
; COMPUTE_PGM_RSRC2:TIDIG_COMP_CNT: 0
; COMPUTE_PGM_RSRC3_GFX90A:ACCUM_OFFSET: 29
; COMPUTE_PGM_RSRC3_GFX90A:TG_SPLIT: 0
	.section	.text._ZN2ck16tensor_operation6device12_GLOBAL__N_137kernel_grouped_conv_fwd_dl_multiple_dINS_32GridwiseGemmDlMultipleD_km_kn_mnILi256EDF16_fNS_5TupleIJDF16_EEEDF16_NS0_12element_wise11PassThroughES8_NS7_7AddReluELNS_25InMemoryDataOperationEnumE0ENS_16TensorDescriptorINS5_IJNS_5EmbedINS5_IJiiiiiEEESD_Lb0EEENS_11PassThroughIiEENS_3PadIiiiLb0EEESI_SI_SG_SG_NSC_INS5_IJiiEEESJ_Lb0EEESK_SK_SG_NS_23Merge_v2_magic_divisionINS5_IJiiiiEEEEESN_NS_8RightPadIiiLb0EEESP_NS_7UnMergeISJ_Lb0EEESG_EEENS5_IJNS_8SequenceIJLi0EEEENST_IJLi1EEEENST_IJLi2EEEENST_IJLi3EEEENST_IJLi4EEEENST_IJLi5EEEENST_IJLi6EEEENST_IJLi7EEEENST_IJLi8EEEENST_IJLi9EEEENST_IJLi10EEEENST_IJLi11ELi13ELi15ELi17EEEENST_IJLi12ELi14ELi16ELi18EEEENST_IJLi19EEEENST_IJLi20EEEENST_IJLi22EEEENST_IJLi21EEEEEEENS5_IJNST_IJLi1ELi2ELi3ELi4ELi5EEEES10_S11_S12_S13_S14_NST_IJLi11EEEENST_IJLi12ELi13EEEENST_IJLi14ELi15EEEENST_IJLi16ELi17EEEENST_IJLi18EEEES17_S18_S1A_S19_NST_IJLi23ELi24EEEENST_IJLi25EEEEEEENST_IJLi23ELi25ELi24EEEElEENSB_INS5_IJSR_SP_SP_SR_SG_EEENS5_IJSU_SV_SW_SY_SX_EEENS5_IJNST_IJLi1ELi2EEEESX_SY_NST_IJLi5ELi6EEEES11_EEENST_IJLi5ELi7ELi6EEEElEENSB_INS5_IJSK_SP_SP_EEENS5_IJSU_SV_SW_EEENS5_IJS1P_SX_SY_EEENST_IJLi3ELi4EEEElEELi128ELi128ELi16ELi2ELi4ELi4ELi1ENST_IJLi8ELi2EEEES1Z_NST_IJLi8ELi1ELi1ELi2EEEENST_IJLi2ELi1ELi128ELi1EEEENST_IJLi1ELi2ELi0ELi3EEEES22_NST_IJLi4ELi1ELi1ELi2EEEES22_NST_IJLi1ELi1ELi1ELi2EEEES20_S21_S22_S22_S23_S22_S24_NST_IJLi0ELi1ELi2ELi3ELi4ELi5EEEELi5ELi4EEEDF16_NS5_IJPKDF16_EEEDF16_S8_S8_S9_NSB_INS5_IJSE_SG_SI_SI_SI_SG_SG_SK_SK_SK_SG_SN_SN_SP_SP_SR_SG_SG_NSQ_INS5_IJiNS_17integral_constantIiLi128EEEEEELb0EEENSF_INS2A_IiLi2EEEEEEEENS5_IJSU_SV_SW_SX_SY_SZ_S10_S11_S12_S13_S14_S15_S16_S17_S18_S19_S1A_NST_IJLi23EEEES1J_NST_IJLi24EEEEEEENS5_IJS1C_S10_S11_S12_S13_S14_S1D_S1E_S1F_S1G_S1H_S17_S18_S1A_S19_S1I_S1J_NST_IJLi26EEEENST_IJLi27ELi28EEEENST_IJLi29EEEEEEENST_IJLi26ELi27ELi28ELi29EEEElEENSB_INS5_IJSR_SP_SP_SR_SG_SG_S2D_S2F_EEENS5_IJSU_SV_SW_SY_SX_SZ_S11_S10_EEENS5_IJS1P_SX_SY_S1Q_S11_S12_NST_IJLi9ELi10EEEES1D_EEENST_IJLi8ELi9ELi10ELi11EEEElEENS5_IJNSB_INS5_IJSK_SP_SP_NSQ_INS5_IJiS2E_NS2A_IiLi64EEEEEELb0EEES2Y_EEENS5_IJSU_SV_SW_SX_SY_EEENS5_IJS1P_SX_SY_NST_IJLi5ELi6ELi7EEEENST_IJLi8ELi9ELi10EEEEEEENST_IJLi5ELi6ELi7ELi8ELi9ELi10EEEElEEEEES35_NS_31BlockToCTileMap_M00_N00_M01_N01ILi128ELi128ES1Y_Lb0EEENS1_30ComputePtrOffsetOfStridedBatchILi1ELi1ELi1EvEELb0ELb0EEEvPKT0_S3D_T1_PT2_T3_T4_T5_iT6_T7_T8_T9_T10_T11_,"axG",@progbits,_ZN2ck16tensor_operation6device12_GLOBAL__N_137kernel_grouped_conv_fwd_dl_multiple_dINS_32GridwiseGemmDlMultipleD_km_kn_mnILi256EDF16_fNS_5TupleIJDF16_EEEDF16_NS0_12element_wise11PassThroughES8_NS7_7AddReluELNS_25InMemoryDataOperationEnumE0ENS_16TensorDescriptorINS5_IJNS_5EmbedINS5_IJiiiiiEEESD_Lb0EEENS_11PassThroughIiEENS_3PadIiiiLb0EEESI_SI_SG_SG_NSC_INS5_IJiiEEESJ_Lb0EEESK_SK_SG_NS_23Merge_v2_magic_divisionINS5_IJiiiiEEEEESN_NS_8RightPadIiiLb0EEESP_NS_7UnMergeISJ_Lb0EEESG_EEENS5_IJNS_8SequenceIJLi0EEEENST_IJLi1EEEENST_IJLi2EEEENST_IJLi3EEEENST_IJLi4EEEENST_IJLi5EEEENST_IJLi6EEEENST_IJLi7EEEENST_IJLi8EEEENST_IJLi9EEEENST_IJLi10EEEENST_IJLi11ELi13ELi15ELi17EEEENST_IJLi12ELi14ELi16ELi18EEEENST_IJLi19EEEENST_IJLi20EEEENST_IJLi22EEEENST_IJLi21EEEEEEENS5_IJNST_IJLi1ELi2ELi3ELi4ELi5EEEES10_S11_S12_S13_S14_NST_IJLi11EEEENST_IJLi12ELi13EEEENST_IJLi14ELi15EEEENST_IJLi16ELi17EEEENST_IJLi18EEEES17_S18_S1A_S19_NST_IJLi23ELi24EEEENST_IJLi25EEEEEEENST_IJLi23ELi25ELi24EEEElEENSB_INS5_IJSR_SP_SP_SR_SG_EEENS5_IJSU_SV_SW_SY_SX_EEENS5_IJNST_IJLi1ELi2EEEESX_SY_NST_IJLi5ELi6EEEES11_EEENST_IJLi5ELi7ELi6EEEElEENSB_INS5_IJSK_SP_SP_EEENS5_IJSU_SV_SW_EEENS5_IJS1P_SX_SY_EEENST_IJLi3ELi4EEEElEELi128ELi128ELi16ELi2ELi4ELi4ELi1ENST_IJLi8ELi2EEEES1Z_NST_IJLi8ELi1ELi1ELi2EEEENST_IJLi2ELi1ELi128ELi1EEEENST_IJLi1ELi2ELi0ELi3EEEES22_NST_IJLi4ELi1ELi1ELi2EEEES22_NST_IJLi1ELi1ELi1ELi2EEEES20_S21_S22_S22_S23_S22_S24_NST_IJLi0ELi1ELi2ELi3ELi4ELi5EEEELi5ELi4EEEDF16_NS5_IJPKDF16_EEEDF16_S8_S8_S9_NSB_INS5_IJSE_SG_SI_SI_SI_SG_SG_SK_SK_SK_SG_SN_SN_SP_SP_SR_SG_SG_NSQ_INS5_IJiNS_17integral_constantIiLi128EEEEEELb0EEENSF_INS2A_IiLi2EEEEEEEENS5_IJSU_SV_SW_SX_SY_SZ_S10_S11_S12_S13_S14_S15_S16_S17_S18_S19_S1A_NST_IJLi23EEEES1J_NST_IJLi24EEEEEEENS5_IJS1C_S10_S11_S12_S13_S14_S1D_S1E_S1F_S1G_S1H_S17_S18_S1A_S19_S1I_S1J_NST_IJLi26EEEENST_IJLi27ELi28EEEENST_IJLi29EEEEEEENST_IJLi26ELi27ELi28ELi29EEEElEENSB_INS5_IJSR_SP_SP_SR_SG_SG_S2D_S2F_EEENS5_IJSU_SV_SW_SY_SX_SZ_S11_S10_EEENS5_IJS1P_SX_SY_S1Q_S11_S12_NST_IJLi9ELi10EEEES1D_EEENST_IJLi8ELi9ELi10ELi11EEEElEENS5_IJNSB_INS5_IJSK_SP_SP_NSQ_INS5_IJiS2E_NS2A_IiLi64EEEEEELb0EEES2Y_EEENS5_IJSU_SV_SW_SX_SY_EEENS5_IJS1P_SX_SY_NST_IJLi5ELi6ELi7EEEENST_IJLi8ELi9ELi10EEEEEEENST_IJLi5ELi6ELi7ELi8ELi9ELi10EEEElEEEEES35_NS_31BlockToCTileMap_M00_N00_M01_N01ILi128ELi128ES1Y_Lb0EEENS1_30ComputePtrOffsetOfStridedBatchILi1ELi1ELi1EvEELb0ELb0EEEvPKT0_S3D_T1_PT2_T3_T4_T5_iT6_T7_T8_T9_T10_T11_,comdat
	.globl	_ZN2ck16tensor_operation6device12_GLOBAL__N_137kernel_grouped_conv_fwd_dl_multiple_dINS_32GridwiseGemmDlMultipleD_km_kn_mnILi256EDF16_fNS_5TupleIJDF16_EEEDF16_NS0_12element_wise11PassThroughES8_NS7_7AddReluELNS_25InMemoryDataOperationEnumE0ENS_16TensorDescriptorINS5_IJNS_5EmbedINS5_IJiiiiiEEESD_Lb0EEENS_11PassThroughIiEENS_3PadIiiiLb0EEESI_SI_SG_SG_NSC_INS5_IJiiEEESJ_Lb0EEESK_SK_SG_NS_23Merge_v2_magic_divisionINS5_IJiiiiEEEEESN_NS_8RightPadIiiLb0EEESP_NS_7UnMergeISJ_Lb0EEESG_EEENS5_IJNS_8SequenceIJLi0EEEENST_IJLi1EEEENST_IJLi2EEEENST_IJLi3EEEENST_IJLi4EEEENST_IJLi5EEEENST_IJLi6EEEENST_IJLi7EEEENST_IJLi8EEEENST_IJLi9EEEENST_IJLi10EEEENST_IJLi11ELi13ELi15ELi17EEEENST_IJLi12ELi14ELi16ELi18EEEENST_IJLi19EEEENST_IJLi20EEEENST_IJLi22EEEENST_IJLi21EEEEEEENS5_IJNST_IJLi1ELi2ELi3ELi4ELi5EEEES10_S11_S12_S13_S14_NST_IJLi11EEEENST_IJLi12ELi13EEEENST_IJLi14ELi15EEEENST_IJLi16ELi17EEEENST_IJLi18EEEES17_S18_S1A_S19_NST_IJLi23ELi24EEEENST_IJLi25EEEEEEENST_IJLi23ELi25ELi24EEEElEENSB_INS5_IJSR_SP_SP_SR_SG_EEENS5_IJSU_SV_SW_SY_SX_EEENS5_IJNST_IJLi1ELi2EEEESX_SY_NST_IJLi5ELi6EEEES11_EEENST_IJLi5ELi7ELi6EEEElEENSB_INS5_IJSK_SP_SP_EEENS5_IJSU_SV_SW_EEENS5_IJS1P_SX_SY_EEENST_IJLi3ELi4EEEElEELi128ELi128ELi16ELi2ELi4ELi4ELi1ENST_IJLi8ELi2EEEES1Z_NST_IJLi8ELi1ELi1ELi2EEEENST_IJLi2ELi1ELi128ELi1EEEENST_IJLi1ELi2ELi0ELi3EEEES22_NST_IJLi4ELi1ELi1ELi2EEEES22_NST_IJLi1ELi1ELi1ELi2EEEES20_S21_S22_S22_S23_S22_S24_NST_IJLi0ELi1ELi2ELi3ELi4ELi5EEEELi5ELi4EEEDF16_NS5_IJPKDF16_EEEDF16_S8_S8_S9_NSB_INS5_IJSE_SG_SI_SI_SI_SG_SG_SK_SK_SK_SG_SN_SN_SP_SP_SR_SG_SG_NSQ_INS5_IJiNS_17integral_constantIiLi128EEEEEELb0EEENSF_INS2A_IiLi2EEEEEEEENS5_IJSU_SV_SW_SX_SY_SZ_S10_S11_S12_S13_S14_S15_S16_S17_S18_S19_S1A_NST_IJLi23EEEES1J_NST_IJLi24EEEEEEENS5_IJS1C_S10_S11_S12_S13_S14_S1D_S1E_S1F_S1G_S1H_S17_S18_S1A_S19_S1I_S1J_NST_IJLi26EEEENST_IJLi27ELi28EEEENST_IJLi29EEEEEEENST_IJLi26ELi27ELi28ELi29EEEElEENSB_INS5_IJSR_SP_SP_SR_SG_SG_S2D_S2F_EEENS5_IJSU_SV_SW_SY_SX_SZ_S11_S10_EEENS5_IJS1P_SX_SY_S1Q_S11_S12_NST_IJLi9ELi10EEEES1D_EEENST_IJLi8ELi9ELi10ELi11EEEElEENS5_IJNSB_INS5_IJSK_SP_SP_NSQ_INS5_IJiS2E_NS2A_IiLi64EEEEEELb0EEES2Y_EEENS5_IJSU_SV_SW_SX_SY_EEENS5_IJS1P_SX_SY_NST_IJLi5ELi6ELi7EEEENST_IJLi8ELi9ELi10EEEEEEENST_IJLi5ELi6ELi7ELi8ELi9ELi10EEEElEEEEES35_NS_31BlockToCTileMap_M00_N00_M01_N01ILi128ELi128ES1Y_Lb0EEENS1_30ComputePtrOffsetOfStridedBatchILi1ELi1ELi1EvEELb0ELb0EEEvPKT0_S3D_T1_PT2_T3_T4_T5_iT6_T7_T8_T9_T10_T11_ ; -- Begin function _ZN2ck16tensor_operation6device12_GLOBAL__N_137kernel_grouped_conv_fwd_dl_multiple_dINS_32GridwiseGemmDlMultipleD_km_kn_mnILi256EDF16_fNS_5TupleIJDF16_EEEDF16_NS0_12element_wise11PassThroughES8_NS7_7AddReluELNS_25InMemoryDataOperationEnumE0ENS_16TensorDescriptorINS5_IJNS_5EmbedINS5_IJiiiiiEEESD_Lb0EEENS_11PassThroughIiEENS_3PadIiiiLb0EEESI_SI_SG_SG_NSC_INS5_IJiiEEESJ_Lb0EEESK_SK_SG_NS_23Merge_v2_magic_divisionINS5_IJiiiiEEEEESN_NS_8RightPadIiiLb0EEESP_NS_7UnMergeISJ_Lb0EEESG_EEENS5_IJNS_8SequenceIJLi0EEEENST_IJLi1EEEENST_IJLi2EEEENST_IJLi3EEEENST_IJLi4EEEENST_IJLi5EEEENST_IJLi6EEEENST_IJLi7EEEENST_IJLi8EEEENST_IJLi9EEEENST_IJLi10EEEENST_IJLi11ELi13ELi15ELi17EEEENST_IJLi12ELi14ELi16ELi18EEEENST_IJLi19EEEENST_IJLi20EEEENST_IJLi22EEEENST_IJLi21EEEEEEENS5_IJNST_IJLi1ELi2ELi3ELi4ELi5EEEES10_S11_S12_S13_S14_NST_IJLi11EEEENST_IJLi12ELi13EEEENST_IJLi14ELi15EEEENST_IJLi16ELi17EEEENST_IJLi18EEEES17_S18_S1A_S19_NST_IJLi23ELi24EEEENST_IJLi25EEEEEEENST_IJLi23ELi25ELi24EEEElEENSB_INS5_IJSR_SP_SP_SR_SG_EEENS5_IJSU_SV_SW_SY_SX_EEENS5_IJNST_IJLi1ELi2EEEESX_SY_NST_IJLi5ELi6EEEES11_EEENST_IJLi5ELi7ELi6EEEElEENSB_INS5_IJSK_SP_SP_EEENS5_IJSU_SV_SW_EEENS5_IJS1P_SX_SY_EEENST_IJLi3ELi4EEEElEELi128ELi128ELi16ELi2ELi4ELi4ELi1ENST_IJLi8ELi2EEEES1Z_NST_IJLi8ELi1ELi1ELi2EEEENST_IJLi2ELi1ELi128ELi1EEEENST_IJLi1ELi2ELi0ELi3EEEES22_NST_IJLi4ELi1ELi1ELi2EEEES22_NST_IJLi1ELi1ELi1ELi2EEEES20_S21_S22_S22_S23_S22_S24_NST_IJLi0ELi1ELi2ELi3ELi4ELi5EEEELi5ELi4EEEDF16_NS5_IJPKDF16_EEEDF16_S8_S8_S9_NSB_INS5_IJSE_SG_SI_SI_SI_SG_SG_SK_SK_SK_SG_SN_SN_SP_SP_SR_SG_SG_NSQ_INS5_IJiNS_17integral_constantIiLi128EEEEEELb0EEENSF_INS2A_IiLi2EEEEEEEENS5_IJSU_SV_SW_SX_SY_SZ_S10_S11_S12_S13_S14_S15_S16_S17_S18_S19_S1A_NST_IJLi23EEEES1J_NST_IJLi24EEEEEEENS5_IJS1C_S10_S11_S12_S13_S14_S1D_S1E_S1F_S1G_S1H_S17_S18_S1A_S19_S1I_S1J_NST_IJLi26EEEENST_IJLi27ELi28EEEENST_IJLi29EEEEEEENST_IJLi26ELi27ELi28ELi29EEEElEENSB_INS5_IJSR_SP_SP_SR_SG_SG_S2D_S2F_EEENS5_IJSU_SV_SW_SY_SX_SZ_S11_S10_EEENS5_IJS1P_SX_SY_S1Q_S11_S12_NST_IJLi9ELi10EEEES1D_EEENST_IJLi8ELi9ELi10ELi11EEEElEENS5_IJNSB_INS5_IJSK_SP_SP_NSQ_INS5_IJiS2E_NS2A_IiLi64EEEEEELb0EEES2Y_EEENS5_IJSU_SV_SW_SX_SY_EEENS5_IJS1P_SX_SY_NST_IJLi5ELi6ELi7EEEENST_IJLi8ELi9ELi10EEEEEEENST_IJLi5ELi6ELi7ELi8ELi9ELi10EEEElEEEEES35_NS_31BlockToCTileMap_M00_N00_M01_N01ILi128ELi128ES1Y_Lb0EEENS1_30ComputePtrOffsetOfStridedBatchILi1ELi1ELi1EvEELb0ELb0EEEvPKT0_S3D_T1_PT2_T3_T4_T5_iT6_T7_T8_T9_T10_T11_
	.p2align	8
	.type	_ZN2ck16tensor_operation6device12_GLOBAL__N_137kernel_grouped_conv_fwd_dl_multiple_dINS_32GridwiseGemmDlMultipleD_km_kn_mnILi256EDF16_fNS_5TupleIJDF16_EEEDF16_NS0_12element_wise11PassThroughES8_NS7_7AddReluELNS_25InMemoryDataOperationEnumE0ENS_16TensorDescriptorINS5_IJNS_5EmbedINS5_IJiiiiiEEESD_Lb0EEENS_11PassThroughIiEENS_3PadIiiiLb0EEESI_SI_SG_SG_NSC_INS5_IJiiEEESJ_Lb0EEESK_SK_SG_NS_23Merge_v2_magic_divisionINS5_IJiiiiEEEEESN_NS_8RightPadIiiLb0EEESP_NS_7UnMergeISJ_Lb0EEESG_EEENS5_IJNS_8SequenceIJLi0EEEENST_IJLi1EEEENST_IJLi2EEEENST_IJLi3EEEENST_IJLi4EEEENST_IJLi5EEEENST_IJLi6EEEENST_IJLi7EEEENST_IJLi8EEEENST_IJLi9EEEENST_IJLi10EEEENST_IJLi11ELi13ELi15ELi17EEEENST_IJLi12ELi14ELi16ELi18EEEENST_IJLi19EEEENST_IJLi20EEEENST_IJLi22EEEENST_IJLi21EEEEEEENS5_IJNST_IJLi1ELi2ELi3ELi4ELi5EEEES10_S11_S12_S13_S14_NST_IJLi11EEEENST_IJLi12ELi13EEEENST_IJLi14ELi15EEEENST_IJLi16ELi17EEEENST_IJLi18EEEES17_S18_S1A_S19_NST_IJLi23ELi24EEEENST_IJLi25EEEEEEENST_IJLi23ELi25ELi24EEEElEENSB_INS5_IJSR_SP_SP_SR_SG_EEENS5_IJSU_SV_SW_SY_SX_EEENS5_IJNST_IJLi1ELi2EEEESX_SY_NST_IJLi5ELi6EEEES11_EEENST_IJLi5ELi7ELi6EEEElEENSB_INS5_IJSK_SP_SP_EEENS5_IJSU_SV_SW_EEENS5_IJS1P_SX_SY_EEENST_IJLi3ELi4EEEElEELi128ELi128ELi16ELi2ELi4ELi4ELi1ENST_IJLi8ELi2EEEES1Z_NST_IJLi8ELi1ELi1ELi2EEEENST_IJLi2ELi1ELi128ELi1EEEENST_IJLi1ELi2ELi0ELi3EEEES22_NST_IJLi4ELi1ELi1ELi2EEEES22_NST_IJLi1ELi1ELi1ELi2EEEES20_S21_S22_S22_S23_S22_S24_NST_IJLi0ELi1ELi2ELi3ELi4ELi5EEEELi5ELi4EEEDF16_NS5_IJPKDF16_EEEDF16_S8_S8_S9_NSB_INS5_IJSE_SG_SI_SI_SI_SG_SG_SK_SK_SK_SG_SN_SN_SP_SP_SR_SG_SG_NSQ_INS5_IJiNS_17integral_constantIiLi128EEEEEELb0EEENSF_INS2A_IiLi2EEEEEEEENS5_IJSU_SV_SW_SX_SY_SZ_S10_S11_S12_S13_S14_S15_S16_S17_S18_S19_S1A_NST_IJLi23EEEES1J_NST_IJLi24EEEEEEENS5_IJS1C_S10_S11_S12_S13_S14_S1D_S1E_S1F_S1G_S1H_S17_S18_S1A_S19_S1I_S1J_NST_IJLi26EEEENST_IJLi27ELi28EEEENST_IJLi29EEEEEEENST_IJLi26ELi27ELi28ELi29EEEElEENSB_INS5_IJSR_SP_SP_SR_SG_SG_S2D_S2F_EEENS5_IJSU_SV_SW_SY_SX_SZ_S11_S10_EEENS5_IJS1P_SX_SY_S1Q_S11_S12_NST_IJLi9ELi10EEEES1D_EEENST_IJLi8ELi9ELi10ELi11EEEElEENS5_IJNSB_INS5_IJSK_SP_SP_NSQ_INS5_IJiS2E_NS2A_IiLi64EEEEEELb0EEES2Y_EEENS5_IJSU_SV_SW_SX_SY_EEENS5_IJS1P_SX_SY_NST_IJLi5ELi6ELi7EEEENST_IJLi8ELi9ELi10EEEEEEENST_IJLi5ELi6ELi7ELi8ELi9ELi10EEEElEEEEES35_NS_31BlockToCTileMap_M00_N00_M01_N01ILi128ELi128ES1Y_Lb0EEENS1_30ComputePtrOffsetOfStridedBatchILi1ELi1ELi1EvEELb0ELb0EEEvPKT0_S3D_T1_PT2_T3_T4_T5_iT6_T7_T8_T9_T10_T11_,@function
_ZN2ck16tensor_operation6device12_GLOBAL__N_137kernel_grouped_conv_fwd_dl_multiple_dINS_32GridwiseGemmDlMultipleD_km_kn_mnILi256EDF16_fNS_5TupleIJDF16_EEEDF16_NS0_12element_wise11PassThroughES8_NS7_7AddReluELNS_25InMemoryDataOperationEnumE0ENS_16TensorDescriptorINS5_IJNS_5EmbedINS5_IJiiiiiEEESD_Lb0EEENS_11PassThroughIiEENS_3PadIiiiLb0EEESI_SI_SG_SG_NSC_INS5_IJiiEEESJ_Lb0EEESK_SK_SG_NS_23Merge_v2_magic_divisionINS5_IJiiiiEEEEESN_NS_8RightPadIiiLb0EEESP_NS_7UnMergeISJ_Lb0EEESG_EEENS5_IJNS_8SequenceIJLi0EEEENST_IJLi1EEEENST_IJLi2EEEENST_IJLi3EEEENST_IJLi4EEEENST_IJLi5EEEENST_IJLi6EEEENST_IJLi7EEEENST_IJLi8EEEENST_IJLi9EEEENST_IJLi10EEEENST_IJLi11ELi13ELi15ELi17EEEENST_IJLi12ELi14ELi16ELi18EEEENST_IJLi19EEEENST_IJLi20EEEENST_IJLi22EEEENST_IJLi21EEEEEEENS5_IJNST_IJLi1ELi2ELi3ELi4ELi5EEEES10_S11_S12_S13_S14_NST_IJLi11EEEENST_IJLi12ELi13EEEENST_IJLi14ELi15EEEENST_IJLi16ELi17EEEENST_IJLi18EEEES17_S18_S1A_S19_NST_IJLi23ELi24EEEENST_IJLi25EEEEEEENST_IJLi23ELi25ELi24EEEElEENSB_INS5_IJSR_SP_SP_SR_SG_EEENS5_IJSU_SV_SW_SY_SX_EEENS5_IJNST_IJLi1ELi2EEEESX_SY_NST_IJLi5ELi6EEEES11_EEENST_IJLi5ELi7ELi6EEEElEENSB_INS5_IJSK_SP_SP_EEENS5_IJSU_SV_SW_EEENS5_IJS1P_SX_SY_EEENST_IJLi3ELi4EEEElEELi128ELi128ELi16ELi2ELi4ELi4ELi1ENST_IJLi8ELi2EEEES1Z_NST_IJLi8ELi1ELi1ELi2EEEENST_IJLi2ELi1ELi128ELi1EEEENST_IJLi1ELi2ELi0ELi3EEEES22_NST_IJLi4ELi1ELi1ELi2EEEES22_NST_IJLi1ELi1ELi1ELi2EEEES20_S21_S22_S22_S23_S22_S24_NST_IJLi0ELi1ELi2ELi3ELi4ELi5EEEELi5ELi4EEEDF16_NS5_IJPKDF16_EEEDF16_S8_S8_S9_NSB_INS5_IJSE_SG_SI_SI_SI_SG_SG_SK_SK_SK_SG_SN_SN_SP_SP_SR_SG_SG_NSQ_INS5_IJiNS_17integral_constantIiLi128EEEEEELb0EEENSF_INS2A_IiLi2EEEEEEEENS5_IJSU_SV_SW_SX_SY_SZ_S10_S11_S12_S13_S14_S15_S16_S17_S18_S19_S1A_NST_IJLi23EEEES1J_NST_IJLi24EEEEEEENS5_IJS1C_S10_S11_S12_S13_S14_S1D_S1E_S1F_S1G_S1H_S17_S18_S1A_S19_S1I_S1J_NST_IJLi26EEEENST_IJLi27ELi28EEEENST_IJLi29EEEEEEENST_IJLi26ELi27ELi28ELi29EEEElEENSB_INS5_IJSR_SP_SP_SR_SG_SG_S2D_S2F_EEENS5_IJSU_SV_SW_SY_SX_SZ_S11_S10_EEENS5_IJS1P_SX_SY_S1Q_S11_S12_NST_IJLi9ELi10EEEES1D_EEENST_IJLi8ELi9ELi10ELi11EEEElEENS5_IJNSB_INS5_IJSK_SP_SP_NSQ_INS5_IJiS2E_NS2A_IiLi64EEEEEELb0EEES2Y_EEENS5_IJSU_SV_SW_SX_SY_EEENS5_IJS1P_SX_SY_NST_IJLi5ELi6ELi7EEEENST_IJLi8ELi9ELi10EEEEEEENST_IJLi5ELi6ELi7ELi8ELi9ELi10EEEElEEEEES35_NS_31BlockToCTileMap_M00_N00_M01_N01ILi128ELi128ES1Y_Lb0EEENS1_30ComputePtrOffsetOfStridedBatchILi1ELi1ELi1EvEELb0ELb0EEEvPKT0_S3D_T1_PT2_T3_T4_T5_iT6_T7_T8_T9_T10_T11_: ; @_ZN2ck16tensor_operation6device12_GLOBAL__N_137kernel_grouped_conv_fwd_dl_multiple_dINS_32GridwiseGemmDlMultipleD_km_kn_mnILi256EDF16_fNS_5TupleIJDF16_EEEDF16_NS0_12element_wise11PassThroughES8_NS7_7AddReluELNS_25InMemoryDataOperationEnumE0ENS_16TensorDescriptorINS5_IJNS_5EmbedINS5_IJiiiiiEEESD_Lb0EEENS_11PassThroughIiEENS_3PadIiiiLb0EEESI_SI_SG_SG_NSC_INS5_IJiiEEESJ_Lb0EEESK_SK_SG_NS_23Merge_v2_magic_divisionINS5_IJiiiiEEEEESN_NS_8RightPadIiiLb0EEESP_NS_7UnMergeISJ_Lb0EEESG_EEENS5_IJNS_8SequenceIJLi0EEEENST_IJLi1EEEENST_IJLi2EEEENST_IJLi3EEEENST_IJLi4EEEENST_IJLi5EEEENST_IJLi6EEEENST_IJLi7EEEENST_IJLi8EEEENST_IJLi9EEEENST_IJLi10EEEENST_IJLi11ELi13ELi15ELi17EEEENST_IJLi12ELi14ELi16ELi18EEEENST_IJLi19EEEENST_IJLi20EEEENST_IJLi22EEEENST_IJLi21EEEEEEENS5_IJNST_IJLi1ELi2ELi3ELi4ELi5EEEES10_S11_S12_S13_S14_NST_IJLi11EEEENST_IJLi12ELi13EEEENST_IJLi14ELi15EEEENST_IJLi16ELi17EEEENST_IJLi18EEEES17_S18_S1A_S19_NST_IJLi23ELi24EEEENST_IJLi25EEEEEEENST_IJLi23ELi25ELi24EEEElEENSB_INS5_IJSR_SP_SP_SR_SG_EEENS5_IJSU_SV_SW_SY_SX_EEENS5_IJNST_IJLi1ELi2EEEESX_SY_NST_IJLi5ELi6EEEES11_EEENST_IJLi5ELi7ELi6EEEElEENSB_INS5_IJSK_SP_SP_EEENS5_IJSU_SV_SW_EEENS5_IJS1P_SX_SY_EEENST_IJLi3ELi4EEEElEELi128ELi128ELi16ELi2ELi4ELi4ELi1ENST_IJLi8ELi2EEEES1Z_NST_IJLi8ELi1ELi1ELi2EEEENST_IJLi2ELi1ELi128ELi1EEEENST_IJLi1ELi2ELi0ELi3EEEES22_NST_IJLi4ELi1ELi1ELi2EEEES22_NST_IJLi1ELi1ELi1ELi2EEEES20_S21_S22_S22_S23_S22_S24_NST_IJLi0ELi1ELi2ELi3ELi4ELi5EEEELi5ELi4EEEDF16_NS5_IJPKDF16_EEEDF16_S8_S8_S9_NSB_INS5_IJSE_SG_SI_SI_SI_SG_SG_SK_SK_SK_SG_SN_SN_SP_SP_SR_SG_SG_NSQ_INS5_IJiNS_17integral_constantIiLi128EEEEEELb0EEENSF_INS2A_IiLi2EEEEEEEENS5_IJSU_SV_SW_SX_SY_SZ_S10_S11_S12_S13_S14_S15_S16_S17_S18_S19_S1A_NST_IJLi23EEEES1J_NST_IJLi24EEEEEEENS5_IJS1C_S10_S11_S12_S13_S14_S1D_S1E_S1F_S1G_S1H_S17_S18_S1A_S19_S1I_S1J_NST_IJLi26EEEENST_IJLi27ELi28EEEENST_IJLi29EEEEEEENST_IJLi26ELi27ELi28ELi29EEEElEENSB_INS5_IJSR_SP_SP_SR_SG_SG_S2D_S2F_EEENS5_IJSU_SV_SW_SY_SX_SZ_S11_S10_EEENS5_IJS1P_SX_SY_S1Q_S11_S12_NST_IJLi9ELi10EEEES1D_EEENST_IJLi8ELi9ELi10ELi11EEEElEENS5_IJNSB_INS5_IJSK_SP_SP_NSQ_INS5_IJiS2E_NS2A_IiLi64EEEEEELb0EEES2Y_EEENS5_IJSU_SV_SW_SX_SY_EEENS5_IJS1P_SX_SY_NST_IJLi5ELi6ELi7EEEENST_IJLi8ELi9ELi10EEEEEEENST_IJLi5ELi6ELi7ELi8ELi9ELi10EEEElEEEEES35_NS_31BlockToCTileMap_M00_N00_M01_N01ILi128ELi128ES1Y_Lb0EEENS1_30ComputePtrOffsetOfStridedBatchILi1ELi1ELi1EvEELb0ELb0EEEvPKT0_S3D_T1_PT2_T3_T4_T5_iT6_T7_T8_T9_T10_T11_
; %bb.0:
	s_load_dwordx8 s[20:27], s[0:1], 0x0
	s_load_dword s4, s[0:1], 0x24
	s_load_dwordx4 s[64:67], s[0:1], 0x3c
	s_load_dword s3, s[0:1], 0x4c
	s_load_dword s33, s[0:1], 0x58
	s_load_dwordx4 s[52:55], s[0:1], 0x54
	s_waitcnt lgkmcnt(0)
	s_abs_i32 s5, s4
	v_cvt_f32_u32_e32 v1, s5
	s_load_dword s53, s[0:1], 0x64
	s_load_dwordx4 s[56:59], s[0:1], 0x60
	s_load_dword s55, s[0:1], 0x70
	s_load_dwordx4 s[60:63], s[0:1], 0x6c
	s_load_dwordx2 s[82:83], s[0:1], 0xa8
	s_load_dword s6, s[0:1], 0x300
	s_sub_i32 s7, 0, s5
	v_rcp_iflag_f32_e32 v1, v1
	s_load_dwordx2 s[80:81], s[0:1], 0x88
	s_load_dwordx4 s[68:71], s[0:1], 0x98
	s_load_dwordx8 s[12:19], s[0:1], 0xb8
	v_lshlrev_b32_e32 v2, 3, v0
	s_waitcnt lgkmcnt(0)
	s_xor_b32 s4, s6, s4
	v_mul_f32_e32 v1, 0x4f7ffffe, v1
	v_cvt_u32_f32_e32 v1, v1
	s_abs_i32 s6, s6
	s_ashr_i32 s4, s4, 31
	v_and_b32_e32 v25, 8, v2
	v_readfirstlane_b32 s8, v1
	s_mul_i32 s7, s7, s8
	s_mul_hi_u32 s7, s8, s7
	s_add_i32 s8, s8, s7
	s_mul_hi_u32 s7, s6, s8
	s_mul_i32 s8, s7, s5
	s_sub_i32 s6, s6, s8
	s_add_i32 s8, s7, 1
	s_sub_i32 s9, s6, s5
	s_cmp_ge_u32 s6, s5
	s_cselect_b32 s7, s8, s7
	s_cselect_b32 s6, s9, s6
	s_add_i32 s8, s7, 1
	s_cmp_ge_u32 s6, s5
	s_cselect_b32 s5, s8, s7
	s_xor_b32 s5, s5, s4
	s_sub_i32 s15, s5, s4
	s_abs_i32 s19, s15
	v_cvt_f32_u32_e32 v1, s19
	s_load_dwordx4 s[72:75], s[0:1], 0xd8
	s_load_dwordx8 s[4:11], s[0:1], 0xec
	s_load_dwordx8 s[36:43], s[0:1], 0x29c
	s_waitcnt lgkmcnt(0)
	s_xor_b32 s7, s2, s15
	s_sub_i32 s15, 0, s19
	v_rcp_iflag_f32_e32 v1, v1
	s_abs_i32 s11, s2
	s_ashr_i32 s7, s7, 31
	s_load_dwordx4 s[76:79], s[0:1], 0x2c0
	s_load_dwordx8 s[44:51], s[0:1], 0x2d8
	v_mul_f32_e32 v1, 0x4f7ffffe, v1
	v_cvt_u32_f32_e32 v1, v1
	v_lshrrev_b32_e32 v30, 5, v0
	v_lshlrev_b32_e32 v32, 1, v0
	v_lshlrev_b32_e32 v31, 6, v30
	v_readfirstlane_b32 s28, v1
	s_mul_i32 s15, s15, s28
	s_mul_hi_u32 s15, s28, s15
	s_add_i32 s28, s28, s15
	s_mul_hi_u32 s15, s11, s28
	s_mul_i32 s28, s15, s19
	s_sub_i32 s11, s11, s28
	s_add_i32 s28, s15, 1
	s_sub_i32 s29, s11, s19
	s_cmp_ge_u32 s11, s19
	s_cselect_b32 s15, s28, s15
	s_cselect_b32 s11, s29, s11
	s_add_i32 s28, s15, 1
	s_cmp_ge_u32 s11, s19
	s_cselect_b32 s11, s28, s15
	s_xor_b32 s11, s11, s7
	s_sub_i32 s7, s11, s7
	s_ashr_i32 s11, s7, 31
	s_waitcnt lgkmcnt(0)
	s_mul_i32 s15, s44, s11
	s_mul_hi_u32 s19, s44, s7
	s_add_i32 s15, s19, s15
	s_mul_i32 s19, s45, s7
	s_add_i32 s29, s15, s19
	s_mul_i32 s15, s46, s11
	s_mul_hi_u32 s19, s46, s7
	s_add_i32 s15, s19, s15
	s_mul_i32 s19, s47, s7
	s_add_i32 s31, s15, s19
	;; [unrolled: 5-line block ×3, first 2 shown]
	s_mul_i32 s11, s48, s11
	s_mul_hi_u32 s15, s48, s7
	s_add_i32 s11, s15, s11
	s_mul_i32 s15, s49, s7
	s_mul_i32 s28, s44, s7
	s_add_i32 s45, s11, s15
	s_mul_i32 s44, s48, s7
	s_lshl_b64 s[44:45], s[44:45], 1
	s_add_u32 s24, s24, s44
	s_addc_u32 s25, s25, s45
	s_lshl_b64 s[28:29], s[28:29], 1
	s_mul_i32 s30, s46, s7
	s_add_u32 s28, s20, s28
	s_addc_u32 s29, s21, s29
	s_lshl_b64 s[20:21], s[30:31], 1
	s_mul_i32 s34, s50, s7
	s_add_u32 s44, s22, s20
	s_addc_u32 s11, s23, s21
	s_lshl_b64 s[20:21], s[34:35], 1
	s_add_u32 s20, s26, s20
	s_mul_hi_u32 s15, s43, s2
	s_addc_u32 s19, s27, s21
	s_add_i32 s15, s2, s15
	s_lshr_b32 s21, s15, s79
	s_mul_hi_u32 s15, s21, s42
	s_add_i32 s15, s21, s15
	s_lshr_b32 s15, s15, s78
	s_load_dwordx4 s[48:51], s[0:1], 0x10c
	s_load_dword s7, s[0:1], 0x120
	s_load_dword s22, s[0:1], 0x12c
	;; [unrolled: 1-line block ×3, first 2 shown]
	s_mul_hi_u32 s23, s15, s41
	s_add_i32 s23, s15, s23
	s_lshr_b32 s30, s23, s77
	s_mul_i32 s23, s30, s36
	s_mul_i32 s31, s21, s38
	s_load_dwordx4 s[36:39], s[0:1], 0x298
	s_mul_hi_u32 s26, s30, s40
	s_waitcnt lgkmcnt(0)
	v_mul_lo_u32 v26, s27, v25
	s_load_dword s37, s[0:1], 0x27c
	s_load_dword s39, s[0:1], 0x28c
	s_sub_i32 s40, s15, s23
	s_add_i32 s23, s30, s26
	v_mul_hi_u32 v2, v26, s10
	s_lshr_b32 s23, s23, s76
	v_add_u32_e32 v2, v26, v2
	s_mul_i32 s36, s23, s36
	v_lshrrev_b32_e32 v2, s50, v2
	s_mul_i32 s38, s15, s38
	s_sub_i32 s30, s30, s36
	v_mul_lo_u32 v3, v2, s6
	s_sub_i32 s21, s21, s38
	s_waitcnt lgkmcnt(0)
	s_mul_i32 s30, s30, s37
	v_sub_u32_e32 v6, v26, v3
	v_mul_hi_u32 v3, v2, s9
	s_add_i32 s21, s21, s30
	v_add_u32_e32 v3, v2, v3
	v_lshrrev_b32_e32 v1, 1, v0
	s_lshl_b32 s21, s21, 7
	v_lshrrev_b32_e32 v3, s49, v3
	v_or_b32_e32 v27, s21, v1
	v_mul_hi_u32 v4, v3, s8
	v_mul_lo_u32 v5, v3, s5
	v_add_u32_e32 v4, v3, v4
	v_sub_u32_e32 v10, v2, v5
	v_mul_hi_u32 v2, v27, s18
	v_lshrrev_b32_e32 v9, s48, v4
	v_add_u32_e32 v2, v27, v2
	v_mul_lo_u32 v4, v9, s4
	v_lshrrev_b32_e32 v2, s74, v2
	v_sub_u32_e32 v8, v3, v4
	v_mul_hi_u32 v3, v2, s17
	v_add_u32_e32 v3, v2, v3
	v_lshrrev_b32_e32 v3, s73, v3
	v_mul_lo_u32 v4, v3, s13
	v_mul_lo_u32 v5, v2, s14
	v_sub_u32_e32 v7, v2, v4
	v_mul_hi_u32 v2, v3, s16
	v_add_u32_e32 v11, v3, v2
	v_mul_lo_u32 v2, v8, s68
	v_sub_u32_e32 v5, v27, v5
	v_mul_lo_u32 v4, v10, s82
	v_mad_u64_u32 v[18:19], s[16:17], v7, s69, v[2:3]
	v_lshrrev_b32_e32 v7, s72, v11
	v_mad_u64_u32 v[20:21], s[16:17], v5, s83, v[4:5]
	v_mul_lo_u32 v11, v7, s12
	v_mul_lo_u32 v2, v9, s80
	v_subrev_u32_e32 v4, s53, v18
	v_subrev_u32_e32 v5, s55, v20
	v_sub_u32_e32 v3, v3, v11
	v_mad_u64_u32 v[22:23], s[12:13], v3, s81, v[2:3]
	v_mul_lo_u32 v3, v7, s64
	v_mul_lo_u32 v4, v4, s66
	;; [unrolled: 1-line block ×4, first 2 shown]
	v_add3_u32 v4, v5, v7, v4
	v_or_b32_e32 v7, 4, v25
	v_mul_lo_u32 v21, s27, v7
	v_mul_hi_u32 v7, v21, s10
	v_add_u32_e32 v7, v21, v7
	v_lshrrev_b32_e32 v12, s50, v7
	v_mad_u64_u32 v[6:7], s[12:13], v12, s6, v[6:7]
	v_subrev_u32_e32 v2, s33, v22
	v_sub_u32_e32 v13, v21, v6
	v_mul_hi_u32 v6, v12, s9
	v_mul_lo_u32 v2, v2, s65
	v_add_u32_e32 v6, v12, v6
	v_add3_u32 v11, v4, v3, v2
	v_lshrrev_b32_e32 v14, s49, v6
	s_load_dword s41, s[0:1], 0x160
	s_load_dword s42, s[0:1], 0x170
	;; [unrolled: 1-line block ×6, first 2 shown]
	s_load_dwordx2 s[34:35], s[0:1], 0x1d0
	s_load_dword s15, s[0:1], 0x1dc
	s_sub_i32 s2, s2, s31
	s_waitcnt lgkmcnt(0)
	s_lshl_b32 s30, s41, 1
	s_and_b32 s29, s29, 0xffff
	s_mov_b32 s31, 0x20000
	v_lshlrev_b32_e32 v2, 1, v11
	v_mad_u64_u32 v[6:7], s[12:13], v14, s5, v[10:11]
	buffer_load_dwordx4 v[2:5], v2, s[28:31], 0 offen
	v_sub_u32_e32 v10, v12, v6
	v_mul_hi_u32 v6, v14, s8
	v_add_u32_e32 v6, v14, v6
	v_lshrrev_b32_e32 v12, s48, v6
	v_mad_u64_u32 v[6:7], s[4:5], v12, s4, v[8:9]
	s_mul_i32 s40, s40, s39
	v_sub_u32_e32 v6, v14, v6
	v_sub_u32_e32 v7, v12, v9
	s_add_i32 s2, s2, s40
	v_mul_lo_u32 v23, v10, s82
	v_mul_lo_u32 v28, v6, s68
	;; [unrolled: 1-line block ×4, first 2 shown]
	s_lshl_b32 s14, s2, 7
	v_mul_lo_u32 v8, v29, s65
	v_mul_lo_u32 v9, v28, s66
	v_mad_u64_u32 v[6:7], s[2:3], v23, s67, v[6:7]
	v_add3_u32 v6, v6, v8, v9
	v_or_b32_e32 v19, s14, v1
	v_mul_lo_u32 v24, s43, v25
	v_add_lshl_u32 v6, v6, v11, 1
	buffer_load_dwordx4 v[6:9], v6, s[28:31], 0 offen
	v_mad_u64_u32 v[14:15], s[2:3], v19, s42, v[24:25]
	s_lshl_b32 s46, s45, 1
	s_and_b32 s45, s11, 0xffff
	s_mov_b32 s47, s31
	v_lshlrev_b32_e32 v10, 1, v14
	buffer_load_dwordx4 v[10:13], v10, s[44:47], 0 offen
	s_lshl_b32 s16, s43, 2
	v_add_lshl_u32 v14, v14, s16, 1
	buffer_load_dwordx4 v[14:17], v14, s[44:47], 0 offen
	s_sub_i32 s17, s60, s62
	v_cmp_gt_i32_e32 vcc, s22, v26
	v_cmp_gt_i32_e64 s[2:3], s7, v27
	v_cmp_gt_i32_e64 s[6:7], s17, v20
	v_cmp_le_i32_e64 s[4:5], s55, v20
	s_and_b64 s[6:7], s[6:7], vcc
	s_sub_i32 s18, s56, s58
	s_and_b64 s[6:7], s[6:7], s[4:5]
	v_cmp_le_i32_e32 vcc, s53, v18
	v_cmp_gt_i32_e64 s[4:5], s18, v18
	s_and_b64 s[4:5], vcc, s[4:5]
	s_sub_i32 s27, s52, s54
	s_and_b64 s[6:7], s[6:7], s[4:5]
	v_cmp_le_i32_e32 vcc, s33, v22
	v_cmp_gt_i32_e64 s[4:5], s27, v22
	v_and_b32_e32 v33, 0x1f8, v32
	s_and_b64 s[4:5], vcc, s[4:5]
	v_sub_u32_e32 v31, v33, v31
	v_lshlrev_b32_e32 v0, 2, v0
	s_and_b64 s[4:5], s[6:7], s[4:5]
	v_and_or_b32 v64, v0, 4, v31
	v_lshlrev_b32_e32 v0, 3, v30
	s_and_b64 vcc, s[2:3], s[4:5]
	v_and_or_b32 v65, v32, 4, v0
	v_add_u32_e32 v18, v18, v28
	v_lshlrev_b32_e32 v1, 2, v1
	v_lshl_or_b32 v1, v25, 9, v1
	v_lshlrev_b32_e32 v66, 2, v65
	s_load_dword s9, s[0:1], 0x210
	s_load_dwordx2 s[10:11], s[0:1], 0x220
	s_load_dword s12, s[0:1], 0x22c
	s_load_dword s13, s[0:1], 0x238
	;; [unrolled: 1-line block ×3, first 2 shown]
	v_lshlrev_b32_e32 v67, 2, v64
	v_mov_b32_e32 v62, 0
	v_mov_b32_e32 v63, 0
	;; [unrolled: 1-line block ×15, first 2 shown]
	s_waitcnt vmcnt(3)
	v_cndmask_b32_e32 v0, 0, v5, vcc
	v_add_u32_e32 v5, v20, v23
	v_cndmask_b32_e32 v4, 0, v4, vcc
	v_cndmask_b32_e32 v3, 0, v3, vcc
	;; [unrolled: 1-line block ×3, first 2 shown]
	v_cmp_gt_i32_e32 vcc, s22, v21
	v_cmp_gt_i32_e64 s[6:7], s17, v5
	v_cmp_le_i32_e64 s[4:5], s55, v5
	s_and_b64 s[6:7], s[6:7], vcc
	s_and_b64 s[6:7], s[6:7], s[4:5]
	v_cmp_le_i32_e32 vcc, s53, v18
	v_cmp_gt_i32_e64 s[4:5], s18, v18
	v_add_u32_e32 v20, v22, v29
	s_and_b64 s[4:5], vcc, s[4:5]
	s_and_b64 s[6:7], s[6:7], s[4:5]
	v_cmp_le_i32_e32 vcc, s33, v20
	v_cmp_gt_i32_e64 s[4:5], s27, v20
	s_and_b64 s[4:5], vcc, s[4:5]
	s_and_b64 s[4:5], s[6:7], s[4:5]
	s_and_b64 vcc, s[2:3], s[4:5]
	v_cmp_gt_i32_e64 s[2:3], s26, v19
	v_mov_b32_e32 v29, 0
	v_mov_b32_e32 v58, 0
	;; [unrolled: 1-line block ×3, first 2 shown]
	s_waitcnt vmcnt(2)
	v_cndmask_b32_e32 v5, 0, v9, vcc
	v_cndmask_b32_e32 v8, 0, v8, vcc
	;; [unrolled: 1-line block ×4, first 2 shown]
	v_cmp_gt_i32_e32 vcc, s23, v24
	s_and_b64 vcc, vcc, s[2:3]
	v_mov_b32_e32 v56, 0
	s_waitcnt vmcnt(1)
	v_cndmask_b32_e32 v9, 0, v13, vcc
	v_add_u32_e32 v13, s16, v24
	v_cndmask_b32_e32 v12, 0, v12, vcc
	v_cndmask_b32_e32 v11, 0, v11, vcc
	;; [unrolled: 1-line block ×3, first 2 shown]
	v_cmp_gt_i32_e32 vcc, s23, v13
	s_and_b64 vcc, vcc, s[2:3]
	v_mov_b32_e32 v57, 0
	s_waitcnt vmcnt(0)
	v_cndmask_b32_e32 v13, 0, v17, vcc
	v_cndmask_b32_e32 v16, 0, v16, vcc
	;; [unrolled: 1-line block ×4, first 2 shown]
	ds_write2st64_b32 v1, v2, v3 offset1:2
	ds_write2st64_b32 v1, v4, v0 offset0:4 offset1:6
	ds_write2st64_b32 v1, v6, v7 offset0:8 offset1:10
	;; [unrolled: 1-line block ×7, first 2 shown]
	s_waitcnt lgkmcnt(0)
	s_barrier
	ds_read_b128 v[0:3], v66
	ds_read_b128 v[4:7], v67 offset:16384
	ds_read_b128 v[68:71], v67 offset:16640
	;; [unrolled: 1-line block ×3, first 2 shown]
	v_mov_b32_e32 v54, 0
	v_mov_b32_e32 v55, 0
	;; [unrolled: 1-line block ×12, first 2 shown]
	s_waitcnt lgkmcnt(2)
	v_dot2c_f32_f16_e32 v62, v0, v4
	v_dot2c_f32_f16_e32 v63, v0, v5
	v_dot2c_f32_f16_e32 v60, v0, v6
	v_dot2c_f32_f16_e32 v61, v0, v7
	v_dot2c_f32_f16_e32 v50, v1, v4
	v_dot2c_f32_f16_e32 v51, v1, v5
	v_dot2c_f32_f16_e32 v48, v1, v6
	v_dot2c_f32_f16_e32 v49, v1, v7
	v_dot2c_f32_f16_e32 v46, v2, v4
	v_dot2c_f32_f16_e32 v47, v2, v5
	v_dot2c_f32_f16_e32 v42, v2, v6
	v_dot2c_f32_f16_e32 v43, v2, v7
	v_dot2c_f32_f16_e32 v28, v3, v4
	v_dot2c_f32_f16_e32 v29, v3, v5
	v_dot2c_f32_f16_e32 v26, v3, v6
	v_dot2c_f32_f16_e32 v27, v3, v7
	s_waitcnt lgkmcnt(1)
	v_dot2c_f32_f16_e32 v58, v0, v68
	v_dot2c_f32_f16_e32 v59, v0, v69
	;; [unrolled: 1-line block ×16, first 2 shown]
	v_mov_b32_e32 v2, 0
	v_mov_b32_e32 v3, 0
	;; [unrolled: 1-line block ×17, first 2 shown]
	s_waitcnt lgkmcnt(0)
	v_dot2c_f32_f16_e32 v2, v72, v4
	v_dot2c_f32_f16_e32 v3, v72, v5
	;; [unrolled: 1-line block ×16, first 2 shown]
	v_mov_b32_e32 v6, 0
	v_mov_b32_e32 v7, 0
	v_mov_b32_e32 v4, 0
	v_mov_b32_e32 v5, 0
	v_mov_b32_e32 v12, 0
	v_mov_b32_e32 v13, 0
	v_mov_b32_e32 v8, 0
	v_mov_b32_e32 v9, 0
	v_mov_b32_e32 v24, 0
	v_mov_b32_e32 v25, 0
	v_mov_b32_e32 v22, 0
	v_mov_b32_e32 v23, 0
	v_mov_b32_e32 v32, 0
	v_mov_b32_e32 v33, 0
	v_mov_b32_e32 v16, 0
	ds_read_b128 v[76:79], v66 offset:512
	ds_read_b128 v[80:83], v67 offset:16896
	v_dot2c_f32_f16_e32 v6, v72, v68
	v_dot2c_f32_f16_e32 v7, v72, v69
	;; [unrolled: 1-line block ×16, first 2 shown]
	ds_read_b128 v[68:71], v67 offset:17152
	ds_read_b128 v[72:75], v66 offset:768
	s_waitcnt lgkmcnt(2)
	v_dot2c_f32_f16_e32 v62, v76, v80
	v_dot2c_f32_f16_e32 v63, v76, v81
	;; [unrolled: 1-line block ×16, first 2 shown]
	s_waitcnt lgkmcnt(1)
	v_dot2c_f32_f16_e32 v58, v76, v68
	v_dot2c_f32_f16_e32 v59, v76, v69
	;; [unrolled: 1-line block ×16, first 2 shown]
	ds_read_b128 v[76:79], v66 offset:1024
	s_waitcnt lgkmcnt(1)
	v_dot2c_f32_f16_e32 v2, v72, v80
	v_dot2c_f32_f16_e32 v3, v72, v81
	;; [unrolled: 1-line block ×16, first 2 shown]
	ds_read_b128 v[80:83], v67 offset:17408
	v_dot2c_f32_f16_e32 v6, v72, v68
	v_dot2c_f32_f16_e32 v7, v72, v69
	;; [unrolled: 1-line block ×16, first 2 shown]
	ds_read_b128 v[68:71], v67 offset:17664
	ds_read_b128 v[72:75], v66 offset:1280
	s_waitcnt lgkmcnt(2)
	v_dot2c_f32_f16_e32 v62, v76, v80
	v_dot2c_f32_f16_e32 v63, v76, v81
	v_dot2c_f32_f16_e32 v60, v76, v82
	v_dot2c_f32_f16_e32 v61, v76, v83
	v_dot2c_f32_f16_e32 v50, v77, v80
	v_dot2c_f32_f16_e32 v51, v77, v81
	v_dot2c_f32_f16_e32 v48, v77, v82
	v_dot2c_f32_f16_e32 v49, v77, v83
	v_dot2c_f32_f16_e32 v46, v78, v80
	v_dot2c_f32_f16_e32 v47, v78, v81
	v_dot2c_f32_f16_e32 v42, v78, v82
	v_dot2c_f32_f16_e32 v43, v78, v83
	v_dot2c_f32_f16_e32 v28, v79, v80
	v_dot2c_f32_f16_e32 v29, v79, v81
	v_dot2c_f32_f16_e32 v26, v79, v82
	v_dot2c_f32_f16_e32 v27, v79, v83
	s_waitcnt lgkmcnt(1)
	v_dot2c_f32_f16_e32 v58, v76, v68
	v_dot2c_f32_f16_e32 v59, v76, v69
	;; [unrolled: 1-line block ×16, first 2 shown]
	ds_read_b128 v[76:79], v66 offset:1536
	s_waitcnt lgkmcnt(1)
	v_dot2c_f32_f16_e32 v2, v72, v80
	v_dot2c_f32_f16_e32 v3, v72, v81
	;; [unrolled: 1-line block ×16, first 2 shown]
	ds_read_b128 v[80:83], v67 offset:17920
	v_dot2c_f32_f16_e32 v6, v72, v68
	v_dot2c_f32_f16_e32 v7, v72, v69
	;; [unrolled: 1-line block ×16, first 2 shown]
	ds_read_b128 v[68:71], v67 offset:18176
	ds_read_b128 v[72:75], v66 offset:1792
	s_waitcnt lgkmcnt(2)
	v_dot2c_f32_f16_e32 v62, v76, v80
	v_dot2c_f32_f16_e32 v63, v76, v81
	;; [unrolled: 1-line block ×16, first 2 shown]
	s_waitcnt lgkmcnt(1)
	v_dot2c_f32_f16_e32 v58, v76, v68
	v_dot2c_f32_f16_e32 v59, v76, v69
	;; [unrolled: 1-line block ×16, first 2 shown]
	ds_read_b128 v[76:79], v66 offset:2048
	s_waitcnt lgkmcnt(1)
	v_dot2c_f32_f16_e32 v2, v72, v80
	v_dot2c_f32_f16_e32 v3, v72, v81
	;; [unrolled: 1-line block ×16, first 2 shown]
	ds_read_b128 v[80:83], v67 offset:18432
	v_dot2c_f32_f16_e32 v6, v72, v68
	v_dot2c_f32_f16_e32 v7, v72, v69
	;; [unrolled: 1-line block ×16, first 2 shown]
	ds_read_b128 v[68:71], v67 offset:18688
	ds_read_b128 v[72:75], v66 offset:2304
	s_waitcnt lgkmcnt(2)
	v_dot2c_f32_f16_e32 v62, v76, v80
	v_dot2c_f32_f16_e32 v63, v76, v81
	;; [unrolled: 1-line block ×16, first 2 shown]
	s_waitcnt lgkmcnt(1)
	v_dot2c_f32_f16_e32 v58, v76, v68
	v_dot2c_f32_f16_e32 v59, v76, v69
	;; [unrolled: 1-line block ×16, first 2 shown]
	ds_read_b128 v[76:79], v66 offset:2560
	s_waitcnt lgkmcnt(1)
	v_dot2c_f32_f16_e32 v2, v72, v80
	v_dot2c_f32_f16_e32 v3, v72, v81
	;; [unrolled: 1-line block ×16, first 2 shown]
	ds_read_b128 v[80:83], v67 offset:18944
	v_dot2c_f32_f16_e32 v6, v72, v68
	v_dot2c_f32_f16_e32 v7, v72, v69
	;; [unrolled: 1-line block ×16, first 2 shown]
	ds_read_b128 v[68:71], v67 offset:19200
	ds_read_b128 v[72:75], v66 offset:2816
	s_waitcnt lgkmcnt(2)
	v_dot2c_f32_f16_e32 v62, v76, v80
	v_dot2c_f32_f16_e32 v63, v76, v81
	;; [unrolled: 1-line block ×16, first 2 shown]
	s_waitcnt lgkmcnt(1)
	v_dot2c_f32_f16_e32 v58, v76, v68
	v_dot2c_f32_f16_e32 v59, v76, v69
	;; [unrolled: 1-line block ×16, first 2 shown]
	ds_read_b128 v[76:79], v66 offset:3072
	s_waitcnt lgkmcnt(1)
	v_dot2c_f32_f16_e32 v2, v72, v80
	v_dot2c_f32_f16_e32 v3, v72, v81
	;; [unrolled: 1-line block ×16, first 2 shown]
	ds_read_b128 v[80:83], v67 offset:19456
	v_dot2c_f32_f16_e32 v6, v72, v68
	v_dot2c_f32_f16_e32 v7, v72, v69
	;; [unrolled: 1-line block ×16, first 2 shown]
	ds_read_b128 v[68:71], v67 offset:19712
	ds_read_b128 v[72:75], v66 offset:3328
	s_waitcnt lgkmcnt(2)
	v_dot2c_f32_f16_e32 v62, v76, v80
	v_dot2c_f32_f16_e32 v63, v76, v81
	;; [unrolled: 1-line block ×16, first 2 shown]
	s_waitcnt lgkmcnt(1)
	v_dot2c_f32_f16_e32 v58, v76, v68
	v_dot2c_f32_f16_e32 v59, v76, v69
	;; [unrolled: 1-line block ×16, first 2 shown]
	ds_read_b128 v[76:79], v66 offset:3584
	s_waitcnt lgkmcnt(1)
	v_dot2c_f32_f16_e32 v2, v72, v80
	v_dot2c_f32_f16_e32 v3, v72, v81
	;; [unrolled: 1-line block ×16, first 2 shown]
	ds_read_b128 v[80:83], v67 offset:19968
	v_dot2c_f32_f16_e32 v6, v72, v68
	v_dot2c_f32_f16_e32 v7, v72, v69
	;; [unrolled: 1-line block ×16, first 2 shown]
	ds_read_b128 v[68:71], v67 offset:20224
	ds_read_b128 v[72:75], v66 offset:3840
	s_waitcnt lgkmcnt(2)
	v_dot2c_f32_f16_e32 v62, v76, v80
	v_dot2c_f32_f16_e32 v63, v76, v81
	;; [unrolled: 1-line block ×16, first 2 shown]
	s_waitcnt lgkmcnt(1)
	v_dot2c_f32_f16_e32 v58, v76, v68
	v_dot2c_f32_f16_e32 v59, v76, v69
	;; [unrolled: 1-line block ×16, first 2 shown]
	ds_read_b128 v[76:79], v66 offset:4096
	s_waitcnt lgkmcnt(1)
	v_dot2c_f32_f16_e32 v2, v72, v80
	v_dot2c_f32_f16_e32 v3, v72, v81
	;; [unrolled: 1-line block ×16, first 2 shown]
	ds_read_b128 v[80:83], v67 offset:20480
	v_dot2c_f32_f16_e32 v6, v72, v68
	v_dot2c_f32_f16_e32 v7, v72, v69
	;; [unrolled: 1-line block ×16, first 2 shown]
	ds_read_b128 v[68:71], v67 offset:20736
	ds_read_b128 v[72:75], v66 offset:4352
	s_waitcnt lgkmcnt(2)
	v_dot2c_f32_f16_e32 v62, v76, v80
	v_dot2c_f32_f16_e32 v63, v76, v81
	;; [unrolled: 1-line block ×16, first 2 shown]
	s_waitcnt lgkmcnt(1)
	v_dot2c_f32_f16_e32 v58, v76, v68
	v_dot2c_f32_f16_e32 v59, v76, v69
	;; [unrolled: 1-line block ×16, first 2 shown]
	ds_read_b128 v[76:79], v66 offset:4608
	s_waitcnt lgkmcnt(1)
	v_dot2c_f32_f16_e32 v2, v72, v80
	v_dot2c_f32_f16_e32 v3, v72, v81
	;; [unrolled: 1-line block ×16, first 2 shown]
	ds_read_b128 v[80:83], v67 offset:20992
	v_dot2c_f32_f16_e32 v6, v72, v68
	v_dot2c_f32_f16_e32 v7, v72, v69
	;; [unrolled: 1-line block ×16, first 2 shown]
	ds_read_b128 v[68:71], v67 offset:21248
	ds_read_b128 v[72:75], v66 offset:4864
	s_waitcnt lgkmcnt(2)
	v_dot2c_f32_f16_e32 v62, v76, v80
	v_dot2c_f32_f16_e32 v63, v76, v81
	;; [unrolled: 1-line block ×16, first 2 shown]
	s_waitcnt lgkmcnt(1)
	v_dot2c_f32_f16_e32 v58, v76, v68
	v_dot2c_f32_f16_e32 v59, v76, v69
	;; [unrolled: 1-line block ×16, first 2 shown]
	ds_read_b128 v[76:79], v66 offset:5120
	s_waitcnt lgkmcnt(1)
	v_dot2c_f32_f16_e32 v2, v72, v80
	v_dot2c_f32_f16_e32 v3, v72, v81
	;; [unrolled: 1-line block ×16, first 2 shown]
	ds_read_b128 v[80:83], v67 offset:21504
	v_dot2c_f32_f16_e32 v6, v72, v68
	v_dot2c_f32_f16_e32 v7, v72, v69
	;; [unrolled: 1-line block ×16, first 2 shown]
	ds_read_b128 v[68:71], v67 offset:21760
	ds_read_b128 v[72:75], v66 offset:5376
	s_waitcnt lgkmcnt(2)
	v_dot2c_f32_f16_e32 v62, v76, v80
	v_dot2c_f32_f16_e32 v63, v76, v81
	;; [unrolled: 1-line block ×16, first 2 shown]
	s_waitcnt lgkmcnt(1)
	v_dot2c_f32_f16_e32 v58, v76, v68
	v_dot2c_f32_f16_e32 v59, v76, v69
	;; [unrolled: 1-line block ×16, first 2 shown]
	ds_read_b128 v[76:79], v66 offset:5632
	s_waitcnt lgkmcnt(1)
	v_dot2c_f32_f16_e32 v2, v72, v80
	v_dot2c_f32_f16_e32 v3, v72, v81
	;; [unrolled: 1-line block ×16, first 2 shown]
	ds_read_b128 v[80:83], v67 offset:22016
	v_dot2c_f32_f16_e32 v6, v72, v68
	v_dot2c_f32_f16_e32 v7, v72, v69
	;; [unrolled: 1-line block ×16, first 2 shown]
	ds_read_b128 v[68:71], v67 offset:22272
	ds_read_b128 v[72:75], v66 offset:5888
	s_waitcnt lgkmcnt(2)
	v_dot2c_f32_f16_e32 v62, v76, v80
	v_dot2c_f32_f16_e32 v63, v76, v81
	;; [unrolled: 1-line block ×16, first 2 shown]
	s_waitcnt lgkmcnt(1)
	v_dot2c_f32_f16_e32 v58, v76, v68
	v_dot2c_f32_f16_e32 v59, v76, v69
	;; [unrolled: 1-line block ×16, first 2 shown]
	ds_read_b128 v[76:79], v66 offset:6144
	s_waitcnt lgkmcnt(1)
	v_dot2c_f32_f16_e32 v2, v72, v80
	v_dot2c_f32_f16_e32 v3, v72, v81
	;; [unrolled: 1-line block ×16, first 2 shown]
	ds_read_b128 v[80:83], v67 offset:22528
	v_dot2c_f32_f16_e32 v6, v72, v68
	v_dot2c_f32_f16_e32 v7, v72, v69
	;; [unrolled: 1-line block ×16, first 2 shown]
	ds_read_b128 v[68:71], v67 offset:22784
	ds_read_b128 v[72:75], v66 offset:6400
	s_waitcnt lgkmcnt(2)
	v_dot2c_f32_f16_e32 v62, v76, v80
	v_dot2c_f32_f16_e32 v63, v76, v81
	;; [unrolled: 1-line block ×16, first 2 shown]
	s_waitcnt lgkmcnt(1)
	v_dot2c_f32_f16_e32 v58, v76, v68
	v_dot2c_f32_f16_e32 v59, v76, v69
	;; [unrolled: 1-line block ×16, first 2 shown]
	ds_read_b128 v[76:79], v66 offset:6656
	s_waitcnt lgkmcnt(1)
	v_dot2c_f32_f16_e32 v2, v72, v80
	v_dot2c_f32_f16_e32 v3, v72, v81
	;; [unrolled: 1-line block ×16, first 2 shown]
	ds_read_b128 v[80:83], v67 offset:23040
	v_dot2c_f32_f16_e32 v6, v72, v68
	v_dot2c_f32_f16_e32 v7, v72, v69
	;; [unrolled: 1-line block ×16, first 2 shown]
	ds_read_b128 v[68:71], v67 offset:23296
	ds_read_b128 v[72:75], v66 offset:6912
	s_waitcnt lgkmcnt(2)
	v_dot2c_f32_f16_e32 v62, v76, v80
	v_dot2c_f32_f16_e32 v63, v76, v81
	;; [unrolled: 1-line block ×16, first 2 shown]
	s_waitcnt lgkmcnt(1)
	v_dot2c_f32_f16_e32 v58, v76, v68
	v_dot2c_f32_f16_e32 v59, v76, v69
	;; [unrolled: 1-line block ×16, first 2 shown]
	ds_read_b128 v[76:79], v66 offset:7168
	s_waitcnt lgkmcnt(1)
	v_dot2c_f32_f16_e32 v2, v72, v80
	v_dot2c_f32_f16_e32 v3, v72, v81
	;; [unrolled: 1-line block ×16, first 2 shown]
	ds_read_b128 v[80:83], v67 offset:23552
	v_dot2c_f32_f16_e32 v6, v72, v68
	v_dot2c_f32_f16_e32 v7, v72, v69
	;; [unrolled: 1-line block ×16, first 2 shown]
	ds_read_b128 v[68:71], v67 offset:23808
	ds_read_b128 v[72:75], v66 offset:7424
	s_waitcnt lgkmcnt(2)
	v_dot2c_f32_f16_e32 v62, v76, v80
	v_dot2c_f32_f16_e32 v63, v76, v81
	;; [unrolled: 1-line block ×16, first 2 shown]
	s_waitcnt lgkmcnt(1)
	v_dot2c_f32_f16_e32 v58, v76, v68
	v_dot2c_f32_f16_e32 v59, v76, v69
	;; [unrolled: 1-line block ×16, first 2 shown]
	ds_read_b128 v[76:79], v66 offset:7680
	s_waitcnt lgkmcnt(1)
	v_dot2c_f32_f16_e32 v2, v72, v80
	v_dot2c_f32_f16_e32 v3, v72, v81
	;; [unrolled: 1-line block ×16, first 2 shown]
	ds_read_b128 v[80:83], v67 offset:24064
	v_or_b32_e32 v91, s21, v65
	v_dot2c_f32_f16_e32 v6, v72, v68
	v_dot2c_f32_f16_e32 v7, v72, v69
	;; [unrolled: 1-line block ×16, first 2 shown]
	ds_read_b128 v[68:71], v67 offset:24320
	ds_read_b128 v[72:75], v66 offset:7936
	v_add_u32_e32 v90, s14, v64
	v_mul_lo_u32 v64, v91, s34
	v_mad_u64_u32 v[64:65], s[2:3], v90, s35, v[64:65]
	s_lshl_b32 s26, s9, 1
	s_and_b32 s25, s25, 0xffff
	s_mov_b32 s27, s31
	v_lshlrev_b32_e32 v65, 1, v64
	s_lshl_b32 s14, s35, 6
	buffer_load_dwordx2 v[66:67], v65, s[24:27], 0 offen
	v_add_lshl_u32 v65, v64, s14, 1
	s_waitcnt lgkmcnt(2)
	v_dot2c_f32_f16_e32 v62, v76, v80
	v_dot2c_f32_f16_e32 v63, v76, v81
	;; [unrolled: 1-line block ×8, first 2 shown]
	s_waitcnt lgkmcnt(1)
	v_dot2c_f32_f16_e32 v58, v76, v68
	v_dot2c_f32_f16_e32 v59, v76, v69
	;; [unrolled: 1-line block ×8, first 2 shown]
	buffer_load_dwordx2 v[76:77], v65, s[24:27], 0 offen
	v_add_u32_e32 v84, s34, v64
	v_add_u32_e32 v86, s34, v84
	v_dot2c_f32_f16_e32 v46, v78, v80
	v_dot2c_f32_f16_e32 v47, v78, v81
	;; [unrolled: 1-line block ×9, first 2 shown]
	s_waitcnt lgkmcnt(0)
	v_dot2c_f32_f16_e32 v2, v72, v80
	v_dot2c_f32_f16_e32 v14, v73, v80
	;; [unrolled: 1-line block ×3, first 2 shown]
	v_lshlrev_b32_e32 v64, 1, v84
	v_add_lshl_u32 v78, v84, s14, 1
	v_dot2c_f32_f16_e32 v34, v75, v80
	v_lshlrev_b32_e32 v80, 1, v86
	v_dot2c_f32_f16_e32 v29, v79, v81
	v_dot2c_f32_f16_e32 v26, v79, v82
	;; [unrolled: 1-line block ×7, first 2 shown]
	buffer_load_dwordx2 v[78:79], v78, s[24:27], 0 offen
	v_dot2c_f32_f16_e32 v3, v72, v81
	buffer_load_dwordx2 v[84:85], v80, s[24:27], 0 offen
	v_add_lshl_u32 v80, v86, s14, 1
	buffer_load_dwordx2 v[64:65], v64, s[24:27], 0 offen
	v_dot2c_f32_f16_e32 v0, v72, v82
	v_dot2c_f32_f16_e32 v15, v73, v81
	;; [unrolled: 1-line block ×6, first 2 shown]
	buffer_load_dwordx2 v[80:81], v80, s[24:27], 0 offen
	v_dot2c_f32_f16_e32 v30, v75, v82
	v_add_u32_e32 v82, s34, v86
	v_dot2c_f32_f16_e32 v1, v72, v83
	v_dot2c_f32_f16_e32 v11, v73, v83
	;; [unrolled: 1-line block ×4, first 2 shown]
	v_lshlrev_b32_e32 v83, 1, v82
	buffer_load_dwordx2 v[86:87], v83, s[24:27], 0 offen
	v_add_lshl_u32 v83, v82, s14, 1
	buffer_load_dwordx2 v[88:89], v83, s[24:27], 0 offen
	s_load_dword s4, s[0:1], 0x1e8
	v_dot2c_f32_f16_e32 v24, v74, v68
	v_dot2c_f32_f16_e32 v25, v74, v69
	;; [unrolled: 1-line block ×4, first 2 shown]
	v_add_u32_e32 v74, 64, v90
	s_waitcnt lgkmcnt(0)
	v_cmp_gt_i32_e64 s[2:3], s4, v90
	v_cmp_gt_i32_e32 vcc, s15, v91
	v_cmp_gt_i32_e64 s[4:5], s4, v74
	s_and_b64 s[0:1], vcc, s[2:3]
	s_and_b64 vcc, vcc, s[4:5]
	v_dot2c_f32_f16_e32 v6, v72, v68
	v_dot2c_f32_f16_e32 v7, v72, v69
	v_dot2c_f32_f16_e32 v4, v72, v70
	v_dot2c_f32_f16_e32 v5, v72, v71
	v_dot2c_f32_f16_e32 v13, v73, v69
	v_dot2c_f32_f16_e32 v32, v75, v68
	v_dot2c_f32_f16_e32 v33, v75, v69
	v_dot2c_f32_f16_e32 v16, v75, v70
	v_dot2c_f32_f16_e32 v17, v75, v71
	s_waitcnt vmcnt(7)
	v_cndmask_b32_e64 v69, 0, v67, s[0:1]
	v_cndmask_b32_e64 v67, 0, v66, s[0:1]
	v_dot2c_f32_f16_e32 v12, v73, v68
	v_or_b32_e32 v92, 2, v91
	v_cvt_f32_f16_e32 v66, v67
	v_cvt_f32_f16_sdwa v67, v67 dst_sel:DWORD dst_unused:UNUSED_PAD src0_sel:WORD_1
	v_cvt_f32_f16_e32 v68, v69
	v_cvt_f32_f16_sdwa v69, v69 dst_sel:DWORD dst_unused:UNUSED_PAD src0_sel:WORD_1
	v_or_b32_e32 v93, 3, v91
	v_pk_add_f32 v[62:63], v[62:63], v[66:67]
	v_dot2c_f32_f16_e32 v8, v73, v70
	v_pk_add_f32 v[60:61], v[60:61], v[68:69]
	s_waitcnt vmcnt(6)
	v_cndmask_b32_e32 v72, 0, v76, vcc
	v_or_b32_e32 v76, 1, v91
	v_cndmask_b32_e32 v75, 0, v77, vcc
	v_cmp_gt_i32_e32 vcc, s15, v76
	s_and_b64 s[0:1], vcc, s[2:3]
	s_and_b64 vcc, vcc, s[4:5]
	v_max_f32_e32 v63, 0, v63
	v_max_f32_e32 v62, 0, v62
	;; [unrolled: 1-line block ×4, first 2 shown]
	v_dot2c_f32_f16_e32 v9, v73, v71
	v_cvt_pk_f16_f32 v62, v62, v63
	v_cvt_pk_f16_f32 v63, v60, v61
	v_mul_lo_u32 v60, v91, s10
	v_cmp_gt_i32_e64 s[6:7], s12, v91
	s_lshl_b32 s22, s8, 1
	s_and_b32 s21, s19, 0xffff
	s_mov_b32 s23, s31
	s_waitcnt vmcnt(5)
	v_cndmask_b32_e32 v79, 0, v79, vcc
	v_cndmask_b32_e32 v78, 0, v78, vcc
	v_cmp_gt_i32_e32 vcc, s15, v92
	s_waitcnt vmcnt(3)
	v_cndmask_b32_e64 v77, 0, v65, s[0:1]
	v_cndmask_b32_e64 v83, 0, v64, s[0:1]
	s_and_b64 s[0:1], vcc, s[2:3]
	s_and_b64 vcc, vcc, s[4:5]
	v_cndmask_b32_e64 v85, 0, v85, s[0:1]
	v_cndmask_b32_e64 v84, 0, v84, s[0:1]
	s_waitcnt vmcnt(2)
	v_cndmask_b32_e32 v81, 0, v81, vcc
	v_cndmask_b32_e32 v80, 0, v80, vcc
	v_cmp_gt_i32_e32 vcc, s15, v93
	s_and_b64 s[0:1], vcc, s[2:3]
	s_and_b64 vcc, vcc, s[4:5]
	s_waitcnt vmcnt(1)
	v_cndmask_b32_e64 v87, 0, v87, s[0:1]
	v_cndmask_b32_e64 v86, 0, v86, s[0:1]
	v_mad_u64_u32 v[64:65], s[0:1], s34, 61, v[82:83]
	v_lshlrev_b32_e32 v70, 1, v64
	v_add_lshl_u32 v71, v64, s14, 1
	v_add_u32_e32 v82, s34, v64
	s_waitcnt vmcnt(0)
	v_cndmask_b32_e32 v89, 0, v89, vcc
	v_cndmask_b32_e32 v88, 0, v88, vcc
	v_lshlrev_b32_e32 v73, 1, v82
	buffer_load_dwordx2 v[64:65], v70, s[24:27], 0 offen
	buffer_load_dwordx2 v[66:67], v71, s[24:27], 0 offen
	;; [unrolled: 1-line block ×3, first 2 shown]
	v_mad_u64_u32 v[70:71], s[0:1], v90, s11, v[60:61]
	v_cmp_gt_i32_e32 vcc, s13, v90
	v_bfrev_b32_e32 v60, 1
	s_and_b64 s[0:1], s[6:7], vcc
	v_cndmask_b32_e64 v61, v60, 0, s[0:1]
	v_lshl_add_u32 v61, v70, 1, v61
	buffer_store_dwordx2 v[62:63], v61, s[20:23], 0 offen
	v_add_lshl_u32 v61, v82, s14, 1
	v_cvt_f32_f16_e32 v62, v72
	v_cvt_f32_f16_sdwa v63, v72 dst_sel:DWORD dst_unused:UNUSED_PAD src0_sel:WORD_1
	buffer_load_dwordx2 v[72:73], v61, s[24:27], 0 offen
	v_or_b32_e32 v71, 0x41, v91
	s_lshl_b32 s11, s11, 6
	v_pk_add_f32 v[62:63], v[58:59], v[62:63]
	v_or_b32_e32 v58, 64, v91
	v_cmp_gt_i32_e64 s[0:1], s15, v58
	s_and_b64 s[8:9], s[0:1], s[2:3]
	s_and_b64 s[0:1], s[0:1], s[4:5]
	v_max_f32_e32 v63, 0, v63
	v_max_f32_e32 v62, 0, v62
	v_add_u32_e32 v90, s11, v70
	s_waitcnt vmcnt(4)
	v_cndmask_b32_e64 v59, 0, v65, s[8:9]
	v_cndmask_b32_e64 v61, 0, v64, s[8:9]
	v_cvt_f32_f16_e32 v64, v75
	v_cvt_f32_f16_sdwa v65, v75 dst_sel:DWORD dst_unused:UNUSED_PAD src0_sel:WORD_1
	s_waitcnt vmcnt(3)
	v_cndmask_b32_e64 v67, 0, v67, s[0:1]
	v_cndmask_b32_e64 v66, 0, v66, s[0:1]
	v_cmp_gt_i32_e64 s[0:1], s15, v71
	s_and_b64 s[8:9], s[0:1], s[2:3]
	s_and_b64 s[0:1], s[0:1], s[4:5]
	v_pk_add_f32 v[56:57], v[56:57], v[64:65]
	v_add_u32_e32 v75, s34, v82
	v_max_f32_e32 v57, 0, v57
	v_max_f32_e32 v64, 0, v56
	v_cvt_pk_f16_f32 v56, v62, v63
	s_waitcnt vmcnt(0)
	v_cndmask_b32_e64 v73, 0, v73, s[0:1]
	v_cndmask_b32_e64 v72, 0, v72, s[0:1]
	v_cmp_gt_i32_e64 s[0:1], s13, v74
	s_and_b64 s[6:7], s[6:7], s[0:1]
	v_cvt_pk_f16_f32 v57, v64, v57
	v_cvt_f32_f16_e32 v62, v78
	v_cvt_f32_f16_sdwa v63, v78 dst_sel:DWORD dst_unused:UNUSED_PAD src0_sel:WORD_1
	v_cndmask_b32_e64 v64, v60, 0, s[6:7]
	v_lshl_add_u32 v64, v90, 1, v64
	buffer_store_dwordx2 v[56:57], v64, s[20:23], 0 offen
	v_cvt_f32_f16_e32 v56, v79
	v_cvt_f32_f16_sdwa v57, v79 dst_sel:DWORD dst_unused:UNUSED_PAD src0_sel:WORD_1
	v_lshlrev_b32_e32 v82, 1, v75
	v_add_lshl_u32 v74, v75, s14, 1
	v_pk_add_f32 v[54:55], v[54:55], v[62:63]
	buffer_load_dwordx2 v[62:63], v82, s[24:27], 0 offen
	buffer_load_dwordx2 v[64:65], v74, s[24:27], 0 offen
	v_add_u32_e32 v74, s34, v75
	v_lshlrev_b32_e32 v75, 1, v74
	v_pk_add_f32 v[52:53], v[52:53], v[56:57]
	buffer_load_dwordx2 v[56:57], v75, s[24:27], 0 offen
	v_add_lshl_u32 v74, v74, s14, 1
	v_max_f32_e32 v75, 0, v53
	v_max_f32_e32 v78, 0, v52
	buffer_load_dwordx2 v[52:53], v74, s[24:27], 0 offen
	v_or_b32_e32 v74, 0x42, v91
	v_max_f32_e32 v55, 0, v55
	v_max_f32_e32 v54, 0, v54
	v_cmp_gt_i32_e64 s[6:7], s15, v74
	v_cndmask_b32_e64 v69, 0, v69, s[8:9]
	v_cndmask_b32_e64 v68, 0, v68, s[8:9]
	v_cvt_pk_f16_f32 v54, v54, v55
	v_cvt_pk_f16_f32 v55, v78, v75
	s_and_b64 s[8:9], s[6:7], s[2:3]
	s_and_b64 s[6:7], s[6:7], s[4:5]
	v_or_b32_e32 v75, 0x43, v91
	v_add_u32_e32 v82, s10, v90
	s_waitcnt vmcnt(3)
	v_cndmask_b32_e64 v62, 0, v62, s[8:9]
	s_waitcnt vmcnt(2)
	v_cndmask_b32_e64 v65, 0, v65, s[6:7]
	v_cndmask_b32_e64 v64, 0, v64, s[6:7]
	v_cmp_gt_i32_e64 s[6:7], s15, v75
	s_and_b64 s[2:3], s[6:7], s[2:3]
	s_waitcnt vmcnt(1)
	v_cndmask_b32_e64 v57, 0, v57, s[2:3]
	v_cndmask_b32_e64 v56, 0, v56, s[2:3]
	s_and_b64 s[2:3], s[6:7], s[4:5]
	s_lshl_b32 s6, s10, 6
	s_waitcnt vmcnt(0)
	v_cndmask_b32_e64 v78, 0, v53, s[2:3]
	v_cndmask_b32_e64 v79, 0, v52, s[2:3]
	v_cvt_f32_f16_e32 v52, v83
	v_cvt_f32_f16_sdwa v53, v83 dst_sel:DWORD dst_unused:UNUSED_PAD src0_sel:WORD_1
	v_cmp_gt_i32_e64 s[2:3], s12, v76
	s_and_b64 s[4:5], s[2:3], s[0:1]
	v_cndmask_b32_e64 v76, v60, 0, s[4:5]
	v_pk_add_f32 v[50:51], v[50:51], v[52:53]
	v_cvt_f32_f16_e32 v52, v77
	v_cvt_f32_f16_sdwa v53, v77 dst_sel:DWORD dst_unused:UNUSED_PAD src0_sel:WORD_1
	v_max_f32_e32 v51, 0, v51
	v_max_f32_e32 v50, 0, v50
	v_cvt_pk_f16_f32 v50, v50, v51
	v_pk_add_f32 v[48:49], v[48:49], v[52:53]
	v_lshl_add_u32 v76, v82, 1, v76
	v_max_f32_e32 v49, 0, v49
	v_max_f32_e32 v48, 0, v48
	v_cvt_pk_f16_f32 v51, v48, v49
	v_cvt_f32_f16_e32 v48, v84
	v_cvt_f32_f16_sdwa v49, v84 dst_sel:DWORD dst_unused:UNUSED_PAD src0_sel:WORD_1
	s_and_b64 s[2:3], s[2:3], vcc
	buffer_store_dwordx2 v[54:55], v76, s[20:23], 0 offen
	v_add_u32_e32 v54, s10, v70
	v_pk_add_f32 v[46:47], v[46:47], v[48:49]
	v_cvt_f32_f16_e32 v48, v85
	v_cvt_f32_f16_sdwa v49, v85 dst_sel:DWORD dst_unused:UNUSED_PAD src0_sel:WORD_1
	v_max_f32_e32 v47, 0, v47
	v_max_f32_e32 v46, 0, v46
	v_cvt_pk_f16_f32 v46, v46, v47
	v_pk_add_f32 v[42:43], v[42:43], v[48:49]
	v_cndmask_b32_e64 v52, v60, 0, s[2:3]
	v_max_f32_e32 v43, 0, v43
	v_max_f32_e32 v42, 0, v42
	v_cvt_pk_f16_f32 v47, v42, v43
	v_cvt_f32_f16_e32 v42, v80
	v_cvt_f32_f16_sdwa v43, v80 dst_sel:DWORD dst_unused:UNUSED_PAD src0_sel:WORD_1
	v_cmp_gt_i32_e64 s[2:3], s12, v92
	v_lshl_add_u32 v52, v54, 1, v52
	s_and_b64 s[4:5], s[2:3], vcc
	v_pk_add_f32 v[42:43], v[44:45], v[42:43]
	v_cvt_f32_f16_e32 v44, v81
	v_cvt_f32_f16_sdwa v45, v81 dst_sel:DWORD dst_unused:UNUSED_PAD src0_sel:WORD_1
	v_max_f32_e32 v43, 0, v43
	v_max_f32_e32 v42, 0, v42
	v_cvt_pk_f16_f32 v42, v42, v43
	v_pk_add_f32 v[40:41], v[40:41], v[44:45]
	buffer_store_dwordx2 v[50:51], v52, s[20:23], 0 offen
	v_max_f32_e32 v41, 0, v41
	v_max_f32_e32 v40, 0, v40
	v_cvt_pk_f16_f32 v43, v40, v41
	v_cvt_f32_f16_e32 v40, v88
	v_cvt_f32_f16_sdwa v41, v88 dst_sel:DWORD dst_unused:UNUSED_PAD src0_sel:WORD_1
	v_add_u32_e32 v50, s10, v54
	v_cndmask_b32_e64 v48, v60, 0, s[4:5]
	v_lshl_add_u32 v48, v50, 1, v48
	v_pk_add_f32 v[38:39], v[38:39], v[40:41]
	v_cvt_f32_f16_e32 v40, v89
	v_cvt_f32_f16_sdwa v41, v89 dst_sel:DWORD dst_unused:UNUSED_PAD src0_sel:WORD_1
	v_max_f32_e32 v39, 0, v39
	v_max_f32_e32 v38, 0, v38
	v_cvt_pk_f16_f32 v38, v38, v39
	v_pk_add_f32 v[36:37], v[36:37], v[40:41]
	s_and_b64 s[2:3], s[2:3], s[0:1]
	v_max_f32_e32 v37, 0, v37
	v_max_f32_e32 v36, 0, v36
	v_cvt_pk_f16_f32 v39, v36, v37
	v_cvt_f32_f16_e32 v36, v86
	v_cvt_f32_f16_sdwa v37, v86 dst_sel:DWORD dst_unused:UNUSED_PAD src0_sel:WORD_1
	buffer_store_dwordx2 v[46:47], v48, s[20:23], 0 offen
	v_add_u32_e32 v46, s10, v82
	v_cndmask_b32_e64 v44, v60, 0, s[2:3]
	v_pk_add_f32 v[28:29], v[28:29], v[36:37]
	v_cvt_f32_f16_e32 v36, v87
	v_cvt_f32_f16_sdwa v37, v87 dst_sel:DWORD dst_unused:UNUSED_PAD src0_sel:WORD_1
	v_cmp_gt_i32_e64 s[2:3], s12, v93
	v_lshl_add_u32 v44, v46, 1, v44
	s_and_b64 s[4:5], s[2:3], s[0:1]
	buffer_store_dwordx2 v[42:43], v44, s[20:23], 0 offen
	v_add_u32_e32 v42, s10, v46
	v_cndmask_b32_e64 v40, v60, 0, s[4:5]
	v_pk_add_f32 v[26:27], v[26:27], v[36:37]
	v_lshl_add_u32 v40, v42, 1, v40
	v_max_f32_e32 v29, 0, v29
	v_max_f32_e32 v28, 0, v28
	;; [unrolled: 1-line block ×4, first 2 shown]
	s_and_b64 s[2:3], s[2:3], vcc
	buffer_store_dwordx2 v[38:39], v40, s[20:23], 0 offen
	v_subrev_u32_e32 v38, s11, v42
	v_cvt_pk_f16_f32 v28, v28, v29
	v_cvt_pk_f16_f32 v29, v26, v27
	v_cndmask_b32_e64 v26, v60, 0, s[2:3]
	v_lshl_add_u32 v36, v38, 1, v26
	v_cvt_f32_f16_e32 v26, v56
	v_cvt_f32_f16_sdwa v27, v56 dst_sel:DWORD dst_unused:UNUSED_PAD src0_sel:WORD_1
	buffer_store_dwordx2 v[28:29], v36, s[20:23], 0 offen
	v_cvt_f32_f16_e32 v28, v57
	v_cvt_f32_f16_sdwa v29, v57 dst_sel:DWORD dst_unused:UNUSED_PAD src0_sel:WORD_1
	v_pk_add_f32 v[26:27], v[34:35], v[26:27]
	v_cmp_gt_i32_e64 s[2:3], s12, v75
	v_max_f32_e32 v27, 0, v27
	v_max_f32_e32 v26, 0, v26
	v_pk_add_f32 v[28:29], v[30:31], v[28:29]
	v_cvt_pk_f16_f32 v26, v26, v27
	v_max_f32_e32 v27, 0, v29
	v_max_f32_e32 v28, 0, v28
	v_cvt_pk_f16_f32 v27, v28, v27
	v_cvt_f32_f16_e32 v28, v79
	v_cvt_f32_f16_sdwa v29, v79 dst_sel:DWORD dst_unused:UNUSED_PAD src0_sel:WORD_1
	s_and_b64 s[4:5], s[2:3], vcc
	v_add_u32_e32 v36, s6, v38
	v_cndmask_b32_e64 v30, v60, 0, s[4:5]
	v_lshl_add_u32 v30, v36, 1, v30
	buffer_store_dwordx2 v[26:27], v30, s[20:23], 0 offen
	v_pk_add_f32 v[26:27], v[32:33], v[28:29]
	v_cvt_f32_f16_e32 v28, v78
	v_cvt_f32_f16_sdwa v29, v78 dst_sel:DWORD dst_unused:UNUSED_PAD src0_sel:WORD_1
	v_max_f32_e32 v27, 0, v27
	v_max_f32_e32 v26, 0, v26
	v_cvt_pk_f16_f32 v26, v26, v27
	v_pk_add_f32 v[16:17], v[16:17], v[28:29]
	s_and_b64 s[2:3], s[2:3], s[0:1]
	v_max_f32_e32 v17, 0, v17
	v_max_f32_e32 v16, 0, v16
	v_cvt_pk_f16_f32 v27, v16, v17
	v_cvt_f32_f16_e32 v16, v64
	v_cvt_f32_f16_sdwa v17, v64 dst_sel:DWORD dst_unused:UNUSED_PAD src0_sel:WORD_1
	v_add_u32_e32 v30, s6, v42
	v_cndmask_b32_e64 v28, v60, 0, s[2:3]
	v_cmp_ge_i32_e64 s[2:3], s12, v75
	v_pk_add_f32 v[16:17], v[24:25], v[16:17]
	v_cvt_f32_f16_e32 v24, v65
	v_cvt_f32_f16_sdwa v25, v65 dst_sel:DWORD dst_unused:UNUSED_PAD src0_sel:WORD_1
	v_max_f32_e32 v17, 0, v17
	v_max_f32_e32 v16, 0, v16
	v_cvt_pk_f16_f32 v16, v16, v17
	v_pk_add_f32 v[22:23], v[22:23], v[24:25]
	v_lshl_add_u32 v28, v30, 1, v28
	v_max_f32_e32 v17, 0, v23
	v_max_f32_e32 v22, 0, v22
	v_cvt_pk_f16_f32 v17, v22, v17
	v_cvt_f32_f16_e32 v22, v62
	v_cvt_f32_f16_sdwa v23, v62 dst_sel:DWORD dst_unused:UNUSED_PAD src0_sel:WORD_1
	s_and_b64 s[2:3], s[2:3], s[0:1]
	buffer_store_dwordx2 v[26:27], v28, s[20:23], 0 offen
	v_add_u32_e32 v26, s6, v46
	v_cndmask_b32_e64 v24, v60, 0, s[2:3]
	v_cndmask_b32_e64 v63, 0, v63, s[8:9]
	v_lshl_add_u32 v24, v26, 1, v24
	buffer_store_dwordx2 v[16:17], v24, s[20:23], 0 offen
	v_pk_add_f32 v[16:17], v[20:21], v[22:23]
	v_cvt_f32_f16_e32 v20, v63
	v_cvt_f32_f16_sdwa v21, v63 dst_sel:DWORD dst_unused:UNUSED_PAD src0_sel:WORD_1
	v_cmp_gt_i32_e64 s[2:3], s12, v74
	v_max_f32_e32 v17, 0, v17
	v_max_f32_e32 v16, 0, v16
	v_pk_add_f32 v[18:19], v[18:19], v[20:21]
	s_and_b64 s[2:3], s[2:3], vcc
	v_subrev_u32_e32 v24, s11, v26
	v_cvt_pk_f16_f32 v16, v16, v17
	v_max_f32_e32 v17, 0, v19
	v_max_f32_e32 v18, 0, v18
	v_cndmask_b32_e64 v20, v60, 0, s[2:3]
	v_cvt_pk_f16_f32 v17, v18, v17
	v_lshl_add_u32 v20, v24, 1, v20
	v_cvt_f32_f16_e32 v18, v68
	v_cvt_f32_f16_sdwa v19, v68 dst_sel:DWORD dst_unused:UNUSED_PAD src0_sel:WORD_1
	buffer_store_dwordx2 v[16:17], v20, s[20:23], 0 offen
	v_cvt_f32_f16_e32 v16, v69
	v_cvt_f32_f16_sdwa v17, v69 dst_sel:DWORD dst_unused:UNUSED_PAD src0_sel:WORD_1
	v_pk_add_f32 v[14:15], v[14:15], v[18:19]
	v_cmp_ge_i32_e64 s[2:3], s12, v74
	v_max_f32_e32 v15, 0, v15
	v_pk_add_f32 v[10:11], v[10:11], v[16:17]
	v_max_f32_e32 v14, 0, v14
	v_max_f32_e32 v11, 0, v11
	;; [unrolled: 1-line block ×3, first 2 shown]
	v_cvt_pk_f16_f32 v14, v14, v15
	v_cvt_pk_f16_f32 v15, v10, v11
	v_cvt_f32_f16_e32 v10, v72
	v_cvt_f32_f16_sdwa v11, v72 dst_sel:DWORD dst_unused:UNUSED_PAD src0_sel:WORD_1
	s_and_b64 s[2:3], s[2:3], vcc
	v_subrev_u32_e32 v20, s10, v24
	v_cndmask_b32_e64 v16, v60, 0, s[2:3]
	v_pk_add_f32 v[10:11], v[12:13], v[10:11]
	v_cvt_f32_f16_e32 v12, v73
	v_cvt_f32_f16_sdwa v13, v73 dst_sel:DWORD dst_unused:UNUSED_PAD src0_sel:WORD_1
	v_max_f32_e32 v11, 0, v11
	v_max_f32_e32 v10, 0, v10
	v_cvt_pk_f16_f32 v10, v10, v11
	v_pk_add_f32 v[8:9], v[8:9], v[12:13]
	v_cmp_gt_i32_e64 s[2:3], s12, v71
	v_max_f32_e32 v9, 0, v9
	v_max_f32_e32 v8, 0, v8
	v_cvt_pk_f16_f32 v11, v8, v9
	v_cvt_f32_f16_e32 v8, v66
	v_cvt_f32_f16_sdwa v9, v66 dst_sel:DWORD dst_unused:UNUSED_PAD src0_sel:WORD_1
	v_lshl_add_u32 v16, v20, 1, v16
	s_and_b64 s[2:3], s[2:3], s[0:1]
	buffer_store_dwordx2 v[14:15], v16, s[20:23], 0 offen
	v_pk_add_f32 v[6:7], v[6:7], v[8:9]
	v_cvt_f32_f16_e32 v8, v67
	v_cvt_f32_f16_sdwa v9, v67 dst_sel:DWORD dst_unused:UNUSED_PAD src0_sel:WORD_1
	v_max_f32_e32 v7, 0, v7
	v_max_f32_e32 v6, 0, v6
	v_cvt_pk_f16_f32 v6, v6, v7
	v_pk_add_f32 v[4:5], v[4:5], v[8:9]
	v_add_u32_e32 v14, s11, v20
	v_max_f32_e32 v5, 0, v5
	v_max_f32_e32 v4, 0, v4
	v_cvt_pk_f16_f32 v7, v4, v5
	v_cvt_f32_f16_e32 v4, v61
	v_cvt_f32_f16_sdwa v5, v61 dst_sel:DWORD dst_unused:UNUSED_PAD src0_sel:WORD_1
	v_cndmask_b32_e64 v12, v60, 0, s[2:3]
	v_cmp_ge_i32_e64 s[2:3], s12, v71
	v_lshl_add_u32 v12, v14, 1, v12
	v_pk_add_f32 v[2:3], v[2:3], v[4:5]
	v_cvt_f32_f16_e32 v4, v59
	v_cvt_f32_f16_sdwa v5, v59 dst_sel:DWORD dst_unused:UNUSED_PAD src0_sel:WORD_1
	s_and_b64 s[0:1], s[2:3], s[0:1]
	buffer_store_dwordx2 v[10:11], v12, s[20:23], 0 offen
	v_subrev_u32_e32 v10, s10, v14
	v_cndmask_b32_e64 v8, v60, 0, s[0:1]
	v_pk_add_f32 v[0:1], v[0:1], v[4:5]
	v_cmp_gt_i32_e64 s[0:1], s12, v58
	v_lshl_add_u32 v8, v10, 1, v8
	v_max_f32_e32 v3, 0, v3
	v_max_f32_e32 v2, 0, v2
	;; [unrolled: 1-line block ×4, first 2 shown]
	s_and_b64 s[0:1], s[0:1], vcc
	buffer_store_dwordx2 v[6:7], v8, s[20:23], 0 offen
	v_subrev_u32_e32 v6, s11, v10
	v_cvt_pk_f16_f32 v2, v2, v3
	v_cvt_pk_f16_f32 v3, v0, v1
	v_cndmask_b32_e64 v0, v60, 0, s[0:1]
	v_lshl_add_u32 v0, v6, 1, v0
	buffer_store_dwordx2 v[2:3], v0, s[20:23], 0 offen
	s_endpgm
	.section	.rodata,"a",@progbits
	.p2align	6, 0x0
	.amdhsa_kernel _ZN2ck16tensor_operation6device12_GLOBAL__N_137kernel_grouped_conv_fwd_dl_multiple_dINS_32GridwiseGemmDlMultipleD_km_kn_mnILi256EDF16_fNS_5TupleIJDF16_EEEDF16_NS0_12element_wise11PassThroughES8_NS7_7AddReluELNS_25InMemoryDataOperationEnumE0ENS_16TensorDescriptorINS5_IJNS_5EmbedINS5_IJiiiiiEEESD_Lb0EEENS_11PassThroughIiEENS_3PadIiiiLb0EEESI_SI_SG_SG_NSC_INS5_IJiiEEESJ_Lb0EEESK_SK_SG_NS_23Merge_v2_magic_divisionINS5_IJiiiiEEEEESN_NS_8RightPadIiiLb0EEESP_NS_7UnMergeISJ_Lb0EEESG_EEENS5_IJNS_8SequenceIJLi0EEEENST_IJLi1EEEENST_IJLi2EEEENST_IJLi3EEEENST_IJLi4EEEENST_IJLi5EEEENST_IJLi6EEEENST_IJLi7EEEENST_IJLi8EEEENST_IJLi9EEEENST_IJLi10EEEENST_IJLi11ELi13ELi15ELi17EEEENST_IJLi12ELi14ELi16ELi18EEEENST_IJLi19EEEENST_IJLi20EEEENST_IJLi22EEEENST_IJLi21EEEEEEENS5_IJNST_IJLi1ELi2ELi3ELi4ELi5EEEES10_S11_S12_S13_S14_NST_IJLi11EEEENST_IJLi12ELi13EEEENST_IJLi14ELi15EEEENST_IJLi16ELi17EEEENST_IJLi18EEEES17_S18_S1A_S19_NST_IJLi23ELi24EEEENST_IJLi25EEEEEEENST_IJLi23ELi25ELi24EEEElEENSB_INS5_IJSR_SP_SP_SR_SG_EEENS5_IJSU_SV_SW_SY_SX_EEENS5_IJNST_IJLi1ELi2EEEESX_SY_NST_IJLi5ELi6EEEES11_EEENST_IJLi5ELi7ELi6EEEElEENSB_INS5_IJSK_SP_SP_EEENS5_IJSU_SV_SW_EEENS5_IJS1P_SX_SY_EEENST_IJLi3ELi4EEEElEELi128ELi128ELi16ELi2ELi4ELi4ELi1ENST_IJLi8ELi2EEEES1Z_NST_IJLi8ELi1ELi1ELi2EEEENST_IJLi2ELi1ELi128ELi1EEEENST_IJLi1ELi2ELi0ELi3EEEES22_NST_IJLi4ELi1ELi1ELi2EEEES22_NST_IJLi1ELi1ELi1ELi2EEEES20_S21_S22_S22_S23_S22_S24_NST_IJLi0ELi1ELi2ELi3ELi4ELi5EEEELi5ELi4EEEDF16_NS5_IJPKDF16_EEEDF16_S8_S8_S9_NSB_INS5_IJSE_SG_SI_SI_SI_SG_SG_SK_SK_SK_SG_SN_SN_SP_SP_SR_SG_SG_NSQ_INS5_IJiNS_17integral_constantIiLi128EEEEEELb0EEENSF_INS2A_IiLi2EEEEEEEENS5_IJSU_SV_SW_SX_SY_SZ_S10_S11_S12_S13_S14_S15_S16_S17_S18_S19_S1A_NST_IJLi23EEEES1J_NST_IJLi24EEEEEEENS5_IJS1C_S10_S11_S12_S13_S14_S1D_S1E_S1F_S1G_S1H_S17_S18_S1A_S19_S1I_S1J_NST_IJLi26EEEENST_IJLi27ELi28EEEENST_IJLi29EEEEEEENST_IJLi26ELi27ELi28ELi29EEEElEENSB_INS5_IJSR_SP_SP_SR_SG_SG_S2D_S2F_EEENS5_IJSU_SV_SW_SY_SX_SZ_S11_S10_EEENS5_IJS1P_SX_SY_S1Q_S11_S12_NST_IJLi9ELi10EEEES1D_EEENST_IJLi8ELi9ELi10ELi11EEEElEENS5_IJNSB_INS5_IJSK_SP_SP_NSQ_INS5_IJiS2E_NS2A_IiLi64EEEEEELb0EEES2Y_EEENS5_IJSU_SV_SW_SX_SY_EEENS5_IJS1P_SX_SY_NST_IJLi5ELi6ELi7EEEENST_IJLi8ELi9ELi10EEEEEEENST_IJLi5ELi6ELi7ELi8ELi9ELi10EEEElEEEEES35_NS_31BlockToCTileMap_M00_N00_M01_N01ILi128ELi128ES1Y_Lb0EEENS1_30ComputePtrOffsetOfStridedBatchILi1ELi1ELi1EvEELb0ELb0EEEvPKT0_S3D_T1_PT2_T3_T4_T5_iT6_T7_T8_T9_T10_T11_
		.amdhsa_group_segment_fixed_size 32768
		.amdhsa_private_segment_fixed_size 0
		.amdhsa_kernarg_size 1024
		.amdhsa_user_sgpr_count 2
		.amdhsa_user_sgpr_dispatch_ptr 0
		.amdhsa_user_sgpr_queue_ptr 0
		.amdhsa_user_sgpr_kernarg_segment_ptr 1
		.amdhsa_user_sgpr_dispatch_id 0
		.amdhsa_user_sgpr_kernarg_preload_length 0
		.amdhsa_user_sgpr_kernarg_preload_offset 0
		.amdhsa_user_sgpr_private_segment_size 0
		.amdhsa_uses_dynamic_stack 0
		.amdhsa_enable_private_segment 0
		.amdhsa_system_sgpr_workgroup_id_x 1
		.amdhsa_system_sgpr_workgroup_id_y 0
		.amdhsa_system_sgpr_workgroup_id_z 0
		.amdhsa_system_sgpr_workgroup_info 0
		.amdhsa_system_vgpr_workitem_id 0
		.amdhsa_next_free_vgpr 94
		.amdhsa_next_free_sgpr 96
		.amdhsa_accum_offset 96
		.amdhsa_reserve_vcc 1
		.amdhsa_float_round_mode_32 0
		.amdhsa_float_round_mode_16_64 0
		.amdhsa_float_denorm_mode_32 3
		.amdhsa_float_denorm_mode_16_64 3
		.amdhsa_dx10_clamp 1
		.amdhsa_ieee_mode 1
		.amdhsa_fp16_overflow 0
		.amdhsa_tg_split 0
		.amdhsa_exception_fp_ieee_invalid_op 0
		.amdhsa_exception_fp_denorm_src 0
		.amdhsa_exception_fp_ieee_div_zero 0
		.amdhsa_exception_fp_ieee_overflow 0
		.amdhsa_exception_fp_ieee_underflow 0
		.amdhsa_exception_fp_ieee_inexact 0
		.amdhsa_exception_int_div_zero 0
	.end_amdhsa_kernel
	.section	.text._ZN2ck16tensor_operation6device12_GLOBAL__N_137kernel_grouped_conv_fwd_dl_multiple_dINS_32GridwiseGemmDlMultipleD_km_kn_mnILi256EDF16_fNS_5TupleIJDF16_EEEDF16_NS0_12element_wise11PassThroughES8_NS7_7AddReluELNS_25InMemoryDataOperationEnumE0ENS_16TensorDescriptorINS5_IJNS_5EmbedINS5_IJiiiiiEEESD_Lb0EEENS_11PassThroughIiEENS_3PadIiiiLb0EEESI_SI_SG_SG_NSC_INS5_IJiiEEESJ_Lb0EEESK_SK_SG_NS_23Merge_v2_magic_divisionINS5_IJiiiiEEEEESN_NS_8RightPadIiiLb0EEESP_NS_7UnMergeISJ_Lb0EEESG_EEENS5_IJNS_8SequenceIJLi0EEEENST_IJLi1EEEENST_IJLi2EEEENST_IJLi3EEEENST_IJLi4EEEENST_IJLi5EEEENST_IJLi6EEEENST_IJLi7EEEENST_IJLi8EEEENST_IJLi9EEEENST_IJLi10EEEENST_IJLi11ELi13ELi15ELi17EEEENST_IJLi12ELi14ELi16ELi18EEEENST_IJLi19EEEENST_IJLi20EEEENST_IJLi22EEEENST_IJLi21EEEEEEENS5_IJNST_IJLi1ELi2ELi3ELi4ELi5EEEES10_S11_S12_S13_S14_NST_IJLi11EEEENST_IJLi12ELi13EEEENST_IJLi14ELi15EEEENST_IJLi16ELi17EEEENST_IJLi18EEEES17_S18_S1A_S19_NST_IJLi23ELi24EEEENST_IJLi25EEEEEEENST_IJLi23ELi25ELi24EEEElEENSB_INS5_IJSR_SP_SP_SR_SG_EEENS5_IJSU_SV_SW_SY_SX_EEENS5_IJNST_IJLi1ELi2EEEESX_SY_NST_IJLi5ELi6EEEES11_EEENST_IJLi5ELi7ELi6EEEElEENSB_INS5_IJSK_SP_SP_EEENS5_IJSU_SV_SW_EEENS5_IJS1P_SX_SY_EEENST_IJLi3ELi4EEEElEELi128ELi128ELi16ELi2ELi4ELi4ELi1ENST_IJLi8ELi2EEEES1Z_NST_IJLi8ELi1ELi1ELi2EEEENST_IJLi2ELi1ELi128ELi1EEEENST_IJLi1ELi2ELi0ELi3EEEES22_NST_IJLi4ELi1ELi1ELi2EEEES22_NST_IJLi1ELi1ELi1ELi2EEEES20_S21_S22_S22_S23_S22_S24_NST_IJLi0ELi1ELi2ELi3ELi4ELi5EEEELi5ELi4EEEDF16_NS5_IJPKDF16_EEEDF16_S8_S8_S9_NSB_INS5_IJSE_SG_SI_SI_SI_SG_SG_SK_SK_SK_SG_SN_SN_SP_SP_SR_SG_SG_NSQ_INS5_IJiNS_17integral_constantIiLi128EEEEEELb0EEENSF_INS2A_IiLi2EEEEEEEENS5_IJSU_SV_SW_SX_SY_SZ_S10_S11_S12_S13_S14_S15_S16_S17_S18_S19_S1A_NST_IJLi23EEEES1J_NST_IJLi24EEEEEEENS5_IJS1C_S10_S11_S12_S13_S14_S1D_S1E_S1F_S1G_S1H_S17_S18_S1A_S19_S1I_S1J_NST_IJLi26EEEENST_IJLi27ELi28EEEENST_IJLi29EEEEEEENST_IJLi26ELi27ELi28ELi29EEEElEENSB_INS5_IJSR_SP_SP_SR_SG_SG_S2D_S2F_EEENS5_IJSU_SV_SW_SY_SX_SZ_S11_S10_EEENS5_IJS1P_SX_SY_S1Q_S11_S12_NST_IJLi9ELi10EEEES1D_EEENST_IJLi8ELi9ELi10ELi11EEEElEENS5_IJNSB_INS5_IJSK_SP_SP_NSQ_INS5_IJiS2E_NS2A_IiLi64EEEEEELb0EEES2Y_EEENS5_IJSU_SV_SW_SX_SY_EEENS5_IJS1P_SX_SY_NST_IJLi5ELi6ELi7EEEENST_IJLi8ELi9ELi10EEEEEEENST_IJLi5ELi6ELi7ELi8ELi9ELi10EEEElEEEEES35_NS_31BlockToCTileMap_M00_N00_M01_N01ILi128ELi128ES1Y_Lb0EEENS1_30ComputePtrOffsetOfStridedBatchILi1ELi1ELi1EvEELb0ELb0EEEvPKT0_S3D_T1_PT2_T3_T4_T5_iT6_T7_T8_T9_T10_T11_,"axG",@progbits,_ZN2ck16tensor_operation6device12_GLOBAL__N_137kernel_grouped_conv_fwd_dl_multiple_dINS_32GridwiseGemmDlMultipleD_km_kn_mnILi256EDF16_fNS_5TupleIJDF16_EEEDF16_NS0_12element_wise11PassThroughES8_NS7_7AddReluELNS_25InMemoryDataOperationEnumE0ENS_16TensorDescriptorINS5_IJNS_5EmbedINS5_IJiiiiiEEESD_Lb0EEENS_11PassThroughIiEENS_3PadIiiiLb0EEESI_SI_SG_SG_NSC_INS5_IJiiEEESJ_Lb0EEESK_SK_SG_NS_23Merge_v2_magic_divisionINS5_IJiiiiEEEEESN_NS_8RightPadIiiLb0EEESP_NS_7UnMergeISJ_Lb0EEESG_EEENS5_IJNS_8SequenceIJLi0EEEENST_IJLi1EEEENST_IJLi2EEEENST_IJLi3EEEENST_IJLi4EEEENST_IJLi5EEEENST_IJLi6EEEENST_IJLi7EEEENST_IJLi8EEEENST_IJLi9EEEENST_IJLi10EEEENST_IJLi11ELi13ELi15ELi17EEEENST_IJLi12ELi14ELi16ELi18EEEENST_IJLi19EEEENST_IJLi20EEEENST_IJLi22EEEENST_IJLi21EEEEEEENS5_IJNST_IJLi1ELi2ELi3ELi4ELi5EEEES10_S11_S12_S13_S14_NST_IJLi11EEEENST_IJLi12ELi13EEEENST_IJLi14ELi15EEEENST_IJLi16ELi17EEEENST_IJLi18EEEES17_S18_S1A_S19_NST_IJLi23ELi24EEEENST_IJLi25EEEEEEENST_IJLi23ELi25ELi24EEEElEENSB_INS5_IJSR_SP_SP_SR_SG_EEENS5_IJSU_SV_SW_SY_SX_EEENS5_IJNST_IJLi1ELi2EEEESX_SY_NST_IJLi5ELi6EEEES11_EEENST_IJLi5ELi7ELi6EEEElEENSB_INS5_IJSK_SP_SP_EEENS5_IJSU_SV_SW_EEENS5_IJS1P_SX_SY_EEENST_IJLi3ELi4EEEElEELi128ELi128ELi16ELi2ELi4ELi4ELi1ENST_IJLi8ELi2EEEES1Z_NST_IJLi8ELi1ELi1ELi2EEEENST_IJLi2ELi1ELi128ELi1EEEENST_IJLi1ELi2ELi0ELi3EEEES22_NST_IJLi4ELi1ELi1ELi2EEEES22_NST_IJLi1ELi1ELi1ELi2EEEES20_S21_S22_S22_S23_S22_S24_NST_IJLi0ELi1ELi2ELi3ELi4ELi5EEEELi5ELi4EEEDF16_NS5_IJPKDF16_EEEDF16_S8_S8_S9_NSB_INS5_IJSE_SG_SI_SI_SI_SG_SG_SK_SK_SK_SG_SN_SN_SP_SP_SR_SG_SG_NSQ_INS5_IJiNS_17integral_constantIiLi128EEEEEELb0EEENSF_INS2A_IiLi2EEEEEEEENS5_IJSU_SV_SW_SX_SY_SZ_S10_S11_S12_S13_S14_S15_S16_S17_S18_S19_S1A_NST_IJLi23EEEES1J_NST_IJLi24EEEEEEENS5_IJS1C_S10_S11_S12_S13_S14_S1D_S1E_S1F_S1G_S1H_S17_S18_S1A_S19_S1I_S1J_NST_IJLi26EEEENST_IJLi27ELi28EEEENST_IJLi29EEEEEEENST_IJLi26ELi27ELi28ELi29EEEElEENSB_INS5_IJSR_SP_SP_SR_SG_SG_S2D_S2F_EEENS5_IJSU_SV_SW_SY_SX_SZ_S11_S10_EEENS5_IJS1P_SX_SY_S1Q_S11_S12_NST_IJLi9ELi10EEEES1D_EEENST_IJLi8ELi9ELi10ELi11EEEElEENS5_IJNSB_INS5_IJSK_SP_SP_NSQ_INS5_IJiS2E_NS2A_IiLi64EEEEEELb0EEES2Y_EEENS5_IJSU_SV_SW_SX_SY_EEENS5_IJS1P_SX_SY_NST_IJLi5ELi6ELi7EEEENST_IJLi8ELi9ELi10EEEEEEENST_IJLi5ELi6ELi7ELi8ELi9ELi10EEEElEEEEES35_NS_31BlockToCTileMap_M00_N00_M01_N01ILi128ELi128ES1Y_Lb0EEENS1_30ComputePtrOffsetOfStridedBatchILi1ELi1ELi1EvEELb0ELb0EEEvPKT0_S3D_T1_PT2_T3_T4_T5_iT6_T7_T8_T9_T10_T11_,comdat
.Lfunc_end12:
	.size	_ZN2ck16tensor_operation6device12_GLOBAL__N_137kernel_grouped_conv_fwd_dl_multiple_dINS_32GridwiseGemmDlMultipleD_km_kn_mnILi256EDF16_fNS_5TupleIJDF16_EEEDF16_NS0_12element_wise11PassThroughES8_NS7_7AddReluELNS_25InMemoryDataOperationEnumE0ENS_16TensorDescriptorINS5_IJNS_5EmbedINS5_IJiiiiiEEESD_Lb0EEENS_11PassThroughIiEENS_3PadIiiiLb0EEESI_SI_SG_SG_NSC_INS5_IJiiEEESJ_Lb0EEESK_SK_SG_NS_23Merge_v2_magic_divisionINS5_IJiiiiEEEEESN_NS_8RightPadIiiLb0EEESP_NS_7UnMergeISJ_Lb0EEESG_EEENS5_IJNS_8SequenceIJLi0EEEENST_IJLi1EEEENST_IJLi2EEEENST_IJLi3EEEENST_IJLi4EEEENST_IJLi5EEEENST_IJLi6EEEENST_IJLi7EEEENST_IJLi8EEEENST_IJLi9EEEENST_IJLi10EEEENST_IJLi11ELi13ELi15ELi17EEEENST_IJLi12ELi14ELi16ELi18EEEENST_IJLi19EEEENST_IJLi20EEEENST_IJLi22EEEENST_IJLi21EEEEEEENS5_IJNST_IJLi1ELi2ELi3ELi4ELi5EEEES10_S11_S12_S13_S14_NST_IJLi11EEEENST_IJLi12ELi13EEEENST_IJLi14ELi15EEEENST_IJLi16ELi17EEEENST_IJLi18EEEES17_S18_S1A_S19_NST_IJLi23ELi24EEEENST_IJLi25EEEEEEENST_IJLi23ELi25ELi24EEEElEENSB_INS5_IJSR_SP_SP_SR_SG_EEENS5_IJSU_SV_SW_SY_SX_EEENS5_IJNST_IJLi1ELi2EEEESX_SY_NST_IJLi5ELi6EEEES11_EEENST_IJLi5ELi7ELi6EEEElEENSB_INS5_IJSK_SP_SP_EEENS5_IJSU_SV_SW_EEENS5_IJS1P_SX_SY_EEENST_IJLi3ELi4EEEElEELi128ELi128ELi16ELi2ELi4ELi4ELi1ENST_IJLi8ELi2EEEES1Z_NST_IJLi8ELi1ELi1ELi2EEEENST_IJLi2ELi1ELi128ELi1EEEENST_IJLi1ELi2ELi0ELi3EEEES22_NST_IJLi4ELi1ELi1ELi2EEEES22_NST_IJLi1ELi1ELi1ELi2EEEES20_S21_S22_S22_S23_S22_S24_NST_IJLi0ELi1ELi2ELi3ELi4ELi5EEEELi5ELi4EEEDF16_NS5_IJPKDF16_EEEDF16_S8_S8_S9_NSB_INS5_IJSE_SG_SI_SI_SI_SG_SG_SK_SK_SK_SG_SN_SN_SP_SP_SR_SG_SG_NSQ_INS5_IJiNS_17integral_constantIiLi128EEEEEELb0EEENSF_INS2A_IiLi2EEEEEEEENS5_IJSU_SV_SW_SX_SY_SZ_S10_S11_S12_S13_S14_S15_S16_S17_S18_S19_S1A_NST_IJLi23EEEES1J_NST_IJLi24EEEEEEENS5_IJS1C_S10_S11_S12_S13_S14_S1D_S1E_S1F_S1G_S1H_S17_S18_S1A_S19_S1I_S1J_NST_IJLi26EEEENST_IJLi27ELi28EEEENST_IJLi29EEEEEEENST_IJLi26ELi27ELi28ELi29EEEElEENSB_INS5_IJSR_SP_SP_SR_SG_SG_S2D_S2F_EEENS5_IJSU_SV_SW_SY_SX_SZ_S11_S10_EEENS5_IJS1P_SX_SY_S1Q_S11_S12_NST_IJLi9ELi10EEEES1D_EEENST_IJLi8ELi9ELi10ELi11EEEElEENS5_IJNSB_INS5_IJSK_SP_SP_NSQ_INS5_IJiS2E_NS2A_IiLi64EEEEEELb0EEES2Y_EEENS5_IJSU_SV_SW_SX_SY_EEENS5_IJS1P_SX_SY_NST_IJLi5ELi6ELi7EEEENST_IJLi8ELi9ELi10EEEEEEENST_IJLi5ELi6ELi7ELi8ELi9ELi10EEEElEEEEES35_NS_31BlockToCTileMap_M00_N00_M01_N01ILi128ELi128ES1Y_Lb0EEENS1_30ComputePtrOffsetOfStridedBatchILi1ELi1ELi1EvEELb0ELb0EEEvPKT0_S3D_T1_PT2_T3_T4_T5_iT6_T7_T8_T9_T10_T11_, .Lfunc_end12-_ZN2ck16tensor_operation6device12_GLOBAL__N_137kernel_grouped_conv_fwd_dl_multiple_dINS_32GridwiseGemmDlMultipleD_km_kn_mnILi256EDF16_fNS_5TupleIJDF16_EEEDF16_NS0_12element_wise11PassThroughES8_NS7_7AddReluELNS_25InMemoryDataOperationEnumE0ENS_16TensorDescriptorINS5_IJNS_5EmbedINS5_IJiiiiiEEESD_Lb0EEENS_11PassThroughIiEENS_3PadIiiiLb0EEESI_SI_SG_SG_NSC_INS5_IJiiEEESJ_Lb0EEESK_SK_SG_NS_23Merge_v2_magic_divisionINS5_IJiiiiEEEEESN_NS_8RightPadIiiLb0EEESP_NS_7UnMergeISJ_Lb0EEESG_EEENS5_IJNS_8SequenceIJLi0EEEENST_IJLi1EEEENST_IJLi2EEEENST_IJLi3EEEENST_IJLi4EEEENST_IJLi5EEEENST_IJLi6EEEENST_IJLi7EEEENST_IJLi8EEEENST_IJLi9EEEENST_IJLi10EEEENST_IJLi11ELi13ELi15ELi17EEEENST_IJLi12ELi14ELi16ELi18EEEENST_IJLi19EEEENST_IJLi20EEEENST_IJLi22EEEENST_IJLi21EEEEEEENS5_IJNST_IJLi1ELi2ELi3ELi4ELi5EEEES10_S11_S12_S13_S14_NST_IJLi11EEEENST_IJLi12ELi13EEEENST_IJLi14ELi15EEEENST_IJLi16ELi17EEEENST_IJLi18EEEES17_S18_S1A_S19_NST_IJLi23ELi24EEEENST_IJLi25EEEEEEENST_IJLi23ELi25ELi24EEEElEENSB_INS5_IJSR_SP_SP_SR_SG_EEENS5_IJSU_SV_SW_SY_SX_EEENS5_IJNST_IJLi1ELi2EEEESX_SY_NST_IJLi5ELi6EEEES11_EEENST_IJLi5ELi7ELi6EEEElEENSB_INS5_IJSK_SP_SP_EEENS5_IJSU_SV_SW_EEENS5_IJS1P_SX_SY_EEENST_IJLi3ELi4EEEElEELi128ELi128ELi16ELi2ELi4ELi4ELi1ENST_IJLi8ELi2EEEES1Z_NST_IJLi8ELi1ELi1ELi2EEEENST_IJLi2ELi1ELi128ELi1EEEENST_IJLi1ELi2ELi0ELi3EEEES22_NST_IJLi4ELi1ELi1ELi2EEEES22_NST_IJLi1ELi1ELi1ELi2EEEES20_S21_S22_S22_S23_S22_S24_NST_IJLi0ELi1ELi2ELi3ELi4ELi5EEEELi5ELi4EEEDF16_NS5_IJPKDF16_EEEDF16_S8_S8_S9_NSB_INS5_IJSE_SG_SI_SI_SI_SG_SG_SK_SK_SK_SG_SN_SN_SP_SP_SR_SG_SG_NSQ_INS5_IJiNS_17integral_constantIiLi128EEEEEELb0EEENSF_INS2A_IiLi2EEEEEEEENS5_IJSU_SV_SW_SX_SY_SZ_S10_S11_S12_S13_S14_S15_S16_S17_S18_S19_S1A_NST_IJLi23EEEES1J_NST_IJLi24EEEEEEENS5_IJS1C_S10_S11_S12_S13_S14_S1D_S1E_S1F_S1G_S1H_S17_S18_S1A_S19_S1I_S1J_NST_IJLi26EEEENST_IJLi27ELi28EEEENST_IJLi29EEEEEEENST_IJLi26ELi27ELi28ELi29EEEElEENSB_INS5_IJSR_SP_SP_SR_SG_SG_S2D_S2F_EEENS5_IJSU_SV_SW_SY_SX_SZ_S11_S10_EEENS5_IJS1P_SX_SY_S1Q_S11_S12_NST_IJLi9ELi10EEEES1D_EEENST_IJLi8ELi9ELi10ELi11EEEElEENS5_IJNSB_INS5_IJSK_SP_SP_NSQ_INS5_IJiS2E_NS2A_IiLi64EEEEEELb0EEES2Y_EEENS5_IJSU_SV_SW_SX_SY_EEENS5_IJS1P_SX_SY_NST_IJLi5ELi6ELi7EEEENST_IJLi8ELi9ELi10EEEEEEENST_IJLi5ELi6ELi7ELi8ELi9ELi10EEEElEEEEES35_NS_31BlockToCTileMap_M00_N00_M01_N01ILi128ELi128ES1Y_Lb0EEENS1_30ComputePtrOffsetOfStridedBatchILi1ELi1ELi1EvEELb0ELb0EEEvPKT0_S3D_T1_PT2_T3_T4_T5_iT6_T7_T8_T9_T10_T11_
                                        ; -- End function
	.set _ZN2ck16tensor_operation6device12_GLOBAL__N_137kernel_grouped_conv_fwd_dl_multiple_dINS_32GridwiseGemmDlMultipleD_km_kn_mnILi256EDF16_fNS_5TupleIJDF16_EEEDF16_NS0_12element_wise11PassThroughES8_NS7_7AddReluELNS_25InMemoryDataOperationEnumE0ENS_16TensorDescriptorINS5_IJNS_5EmbedINS5_IJiiiiiEEESD_Lb0EEENS_11PassThroughIiEENS_3PadIiiiLb0EEESI_SI_SG_SG_NSC_INS5_IJiiEEESJ_Lb0EEESK_SK_SG_NS_23Merge_v2_magic_divisionINS5_IJiiiiEEEEESN_NS_8RightPadIiiLb0EEESP_NS_7UnMergeISJ_Lb0EEESG_EEENS5_IJNS_8SequenceIJLi0EEEENST_IJLi1EEEENST_IJLi2EEEENST_IJLi3EEEENST_IJLi4EEEENST_IJLi5EEEENST_IJLi6EEEENST_IJLi7EEEENST_IJLi8EEEENST_IJLi9EEEENST_IJLi10EEEENST_IJLi11ELi13ELi15ELi17EEEENST_IJLi12ELi14ELi16ELi18EEEENST_IJLi19EEEENST_IJLi20EEEENST_IJLi22EEEENST_IJLi21EEEEEEENS5_IJNST_IJLi1ELi2ELi3ELi4ELi5EEEES10_S11_S12_S13_S14_NST_IJLi11EEEENST_IJLi12ELi13EEEENST_IJLi14ELi15EEEENST_IJLi16ELi17EEEENST_IJLi18EEEES17_S18_S1A_S19_NST_IJLi23ELi24EEEENST_IJLi25EEEEEEENST_IJLi23ELi25ELi24EEEElEENSB_INS5_IJSR_SP_SP_SR_SG_EEENS5_IJSU_SV_SW_SY_SX_EEENS5_IJNST_IJLi1ELi2EEEESX_SY_NST_IJLi5ELi6EEEES11_EEENST_IJLi5ELi7ELi6EEEElEENSB_INS5_IJSK_SP_SP_EEENS5_IJSU_SV_SW_EEENS5_IJS1P_SX_SY_EEENST_IJLi3ELi4EEEElEELi128ELi128ELi16ELi2ELi4ELi4ELi1ENST_IJLi8ELi2EEEES1Z_NST_IJLi8ELi1ELi1ELi2EEEENST_IJLi2ELi1ELi128ELi1EEEENST_IJLi1ELi2ELi0ELi3EEEES22_NST_IJLi4ELi1ELi1ELi2EEEES22_NST_IJLi1ELi1ELi1ELi2EEEES20_S21_S22_S22_S23_S22_S24_NST_IJLi0ELi1ELi2ELi3ELi4ELi5EEEELi5ELi4EEEDF16_NS5_IJPKDF16_EEEDF16_S8_S8_S9_NSB_INS5_IJSE_SG_SI_SI_SI_SG_SG_SK_SK_SK_SG_SN_SN_SP_SP_SR_SG_SG_NSQ_INS5_IJiNS_17integral_constantIiLi128EEEEEELb0EEENSF_INS2A_IiLi2EEEEEEEENS5_IJSU_SV_SW_SX_SY_SZ_S10_S11_S12_S13_S14_S15_S16_S17_S18_S19_S1A_NST_IJLi23EEEES1J_NST_IJLi24EEEEEEENS5_IJS1C_S10_S11_S12_S13_S14_S1D_S1E_S1F_S1G_S1H_S17_S18_S1A_S19_S1I_S1J_NST_IJLi26EEEENST_IJLi27ELi28EEEENST_IJLi29EEEEEEENST_IJLi26ELi27ELi28ELi29EEEElEENSB_INS5_IJSR_SP_SP_SR_SG_SG_S2D_S2F_EEENS5_IJSU_SV_SW_SY_SX_SZ_S11_S10_EEENS5_IJS1P_SX_SY_S1Q_S11_S12_NST_IJLi9ELi10EEEES1D_EEENST_IJLi8ELi9ELi10ELi11EEEElEENS5_IJNSB_INS5_IJSK_SP_SP_NSQ_INS5_IJiS2E_NS2A_IiLi64EEEEEELb0EEES2Y_EEENS5_IJSU_SV_SW_SX_SY_EEENS5_IJS1P_SX_SY_NST_IJLi5ELi6ELi7EEEENST_IJLi8ELi9ELi10EEEEEEENST_IJLi5ELi6ELi7ELi8ELi9ELi10EEEElEEEEES35_NS_31BlockToCTileMap_M00_N00_M01_N01ILi128ELi128ES1Y_Lb0EEENS1_30ComputePtrOffsetOfStridedBatchILi1ELi1ELi1EvEELb0ELb0EEEvPKT0_S3D_T1_PT2_T3_T4_T5_iT6_T7_T8_T9_T10_T11_.num_vgpr, 94
	.set _ZN2ck16tensor_operation6device12_GLOBAL__N_137kernel_grouped_conv_fwd_dl_multiple_dINS_32GridwiseGemmDlMultipleD_km_kn_mnILi256EDF16_fNS_5TupleIJDF16_EEEDF16_NS0_12element_wise11PassThroughES8_NS7_7AddReluELNS_25InMemoryDataOperationEnumE0ENS_16TensorDescriptorINS5_IJNS_5EmbedINS5_IJiiiiiEEESD_Lb0EEENS_11PassThroughIiEENS_3PadIiiiLb0EEESI_SI_SG_SG_NSC_INS5_IJiiEEESJ_Lb0EEESK_SK_SG_NS_23Merge_v2_magic_divisionINS5_IJiiiiEEEEESN_NS_8RightPadIiiLb0EEESP_NS_7UnMergeISJ_Lb0EEESG_EEENS5_IJNS_8SequenceIJLi0EEEENST_IJLi1EEEENST_IJLi2EEEENST_IJLi3EEEENST_IJLi4EEEENST_IJLi5EEEENST_IJLi6EEEENST_IJLi7EEEENST_IJLi8EEEENST_IJLi9EEEENST_IJLi10EEEENST_IJLi11ELi13ELi15ELi17EEEENST_IJLi12ELi14ELi16ELi18EEEENST_IJLi19EEEENST_IJLi20EEEENST_IJLi22EEEENST_IJLi21EEEEEEENS5_IJNST_IJLi1ELi2ELi3ELi4ELi5EEEES10_S11_S12_S13_S14_NST_IJLi11EEEENST_IJLi12ELi13EEEENST_IJLi14ELi15EEEENST_IJLi16ELi17EEEENST_IJLi18EEEES17_S18_S1A_S19_NST_IJLi23ELi24EEEENST_IJLi25EEEEEEENST_IJLi23ELi25ELi24EEEElEENSB_INS5_IJSR_SP_SP_SR_SG_EEENS5_IJSU_SV_SW_SY_SX_EEENS5_IJNST_IJLi1ELi2EEEESX_SY_NST_IJLi5ELi6EEEES11_EEENST_IJLi5ELi7ELi6EEEElEENSB_INS5_IJSK_SP_SP_EEENS5_IJSU_SV_SW_EEENS5_IJS1P_SX_SY_EEENST_IJLi3ELi4EEEElEELi128ELi128ELi16ELi2ELi4ELi4ELi1ENST_IJLi8ELi2EEEES1Z_NST_IJLi8ELi1ELi1ELi2EEEENST_IJLi2ELi1ELi128ELi1EEEENST_IJLi1ELi2ELi0ELi3EEEES22_NST_IJLi4ELi1ELi1ELi2EEEES22_NST_IJLi1ELi1ELi1ELi2EEEES20_S21_S22_S22_S23_S22_S24_NST_IJLi0ELi1ELi2ELi3ELi4ELi5EEEELi5ELi4EEEDF16_NS5_IJPKDF16_EEEDF16_S8_S8_S9_NSB_INS5_IJSE_SG_SI_SI_SI_SG_SG_SK_SK_SK_SG_SN_SN_SP_SP_SR_SG_SG_NSQ_INS5_IJiNS_17integral_constantIiLi128EEEEEELb0EEENSF_INS2A_IiLi2EEEEEEEENS5_IJSU_SV_SW_SX_SY_SZ_S10_S11_S12_S13_S14_S15_S16_S17_S18_S19_S1A_NST_IJLi23EEEES1J_NST_IJLi24EEEEEEENS5_IJS1C_S10_S11_S12_S13_S14_S1D_S1E_S1F_S1G_S1H_S17_S18_S1A_S19_S1I_S1J_NST_IJLi26EEEENST_IJLi27ELi28EEEENST_IJLi29EEEEEEENST_IJLi26ELi27ELi28ELi29EEEElEENSB_INS5_IJSR_SP_SP_SR_SG_SG_S2D_S2F_EEENS5_IJSU_SV_SW_SY_SX_SZ_S11_S10_EEENS5_IJS1P_SX_SY_S1Q_S11_S12_NST_IJLi9ELi10EEEES1D_EEENST_IJLi8ELi9ELi10ELi11EEEElEENS5_IJNSB_INS5_IJSK_SP_SP_NSQ_INS5_IJiS2E_NS2A_IiLi64EEEEEELb0EEES2Y_EEENS5_IJSU_SV_SW_SX_SY_EEENS5_IJS1P_SX_SY_NST_IJLi5ELi6ELi7EEEENST_IJLi8ELi9ELi10EEEEEEENST_IJLi5ELi6ELi7ELi8ELi9ELi10EEEElEEEEES35_NS_31BlockToCTileMap_M00_N00_M01_N01ILi128ELi128ES1Y_Lb0EEENS1_30ComputePtrOffsetOfStridedBatchILi1ELi1ELi1EvEELb0ELb0EEEvPKT0_S3D_T1_PT2_T3_T4_T5_iT6_T7_T8_T9_T10_T11_.num_agpr, 0
	.set _ZN2ck16tensor_operation6device12_GLOBAL__N_137kernel_grouped_conv_fwd_dl_multiple_dINS_32GridwiseGemmDlMultipleD_km_kn_mnILi256EDF16_fNS_5TupleIJDF16_EEEDF16_NS0_12element_wise11PassThroughES8_NS7_7AddReluELNS_25InMemoryDataOperationEnumE0ENS_16TensorDescriptorINS5_IJNS_5EmbedINS5_IJiiiiiEEESD_Lb0EEENS_11PassThroughIiEENS_3PadIiiiLb0EEESI_SI_SG_SG_NSC_INS5_IJiiEEESJ_Lb0EEESK_SK_SG_NS_23Merge_v2_magic_divisionINS5_IJiiiiEEEEESN_NS_8RightPadIiiLb0EEESP_NS_7UnMergeISJ_Lb0EEESG_EEENS5_IJNS_8SequenceIJLi0EEEENST_IJLi1EEEENST_IJLi2EEEENST_IJLi3EEEENST_IJLi4EEEENST_IJLi5EEEENST_IJLi6EEEENST_IJLi7EEEENST_IJLi8EEEENST_IJLi9EEEENST_IJLi10EEEENST_IJLi11ELi13ELi15ELi17EEEENST_IJLi12ELi14ELi16ELi18EEEENST_IJLi19EEEENST_IJLi20EEEENST_IJLi22EEEENST_IJLi21EEEEEEENS5_IJNST_IJLi1ELi2ELi3ELi4ELi5EEEES10_S11_S12_S13_S14_NST_IJLi11EEEENST_IJLi12ELi13EEEENST_IJLi14ELi15EEEENST_IJLi16ELi17EEEENST_IJLi18EEEES17_S18_S1A_S19_NST_IJLi23ELi24EEEENST_IJLi25EEEEEEENST_IJLi23ELi25ELi24EEEElEENSB_INS5_IJSR_SP_SP_SR_SG_EEENS5_IJSU_SV_SW_SY_SX_EEENS5_IJNST_IJLi1ELi2EEEESX_SY_NST_IJLi5ELi6EEEES11_EEENST_IJLi5ELi7ELi6EEEElEENSB_INS5_IJSK_SP_SP_EEENS5_IJSU_SV_SW_EEENS5_IJS1P_SX_SY_EEENST_IJLi3ELi4EEEElEELi128ELi128ELi16ELi2ELi4ELi4ELi1ENST_IJLi8ELi2EEEES1Z_NST_IJLi8ELi1ELi1ELi2EEEENST_IJLi2ELi1ELi128ELi1EEEENST_IJLi1ELi2ELi0ELi3EEEES22_NST_IJLi4ELi1ELi1ELi2EEEES22_NST_IJLi1ELi1ELi1ELi2EEEES20_S21_S22_S22_S23_S22_S24_NST_IJLi0ELi1ELi2ELi3ELi4ELi5EEEELi5ELi4EEEDF16_NS5_IJPKDF16_EEEDF16_S8_S8_S9_NSB_INS5_IJSE_SG_SI_SI_SI_SG_SG_SK_SK_SK_SG_SN_SN_SP_SP_SR_SG_SG_NSQ_INS5_IJiNS_17integral_constantIiLi128EEEEEELb0EEENSF_INS2A_IiLi2EEEEEEEENS5_IJSU_SV_SW_SX_SY_SZ_S10_S11_S12_S13_S14_S15_S16_S17_S18_S19_S1A_NST_IJLi23EEEES1J_NST_IJLi24EEEEEEENS5_IJS1C_S10_S11_S12_S13_S14_S1D_S1E_S1F_S1G_S1H_S17_S18_S1A_S19_S1I_S1J_NST_IJLi26EEEENST_IJLi27ELi28EEEENST_IJLi29EEEEEEENST_IJLi26ELi27ELi28ELi29EEEElEENSB_INS5_IJSR_SP_SP_SR_SG_SG_S2D_S2F_EEENS5_IJSU_SV_SW_SY_SX_SZ_S11_S10_EEENS5_IJS1P_SX_SY_S1Q_S11_S12_NST_IJLi9ELi10EEEES1D_EEENST_IJLi8ELi9ELi10ELi11EEEElEENS5_IJNSB_INS5_IJSK_SP_SP_NSQ_INS5_IJiS2E_NS2A_IiLi64EEEEEELb0EEES2Y_EEENS5_IJSU_SV_SW_SX_SY_EEENS5_IJS1P_SX_SY_NST_IJLi5ELi6ELi7EEEENST_IJLi8ELi9ELi10EEEEEEENST_IJLi5ELi6ELi7ELi8ELi9ELi10EEEElEEEEES35_NS_31BlockToCTileMap_M00_N00_M01_N01ILi128ELi128ES1Y_Lb0EEENS1_30ComputePtrOffsetOfStridedBatchILi1ELi1ELi1EvEELb0ELb0EEEvPKT0_S3D_T1_PT2_T3_T4_T5_iT6_T7_T8_T9_T10_T11_.numbered_sgpr, 84
	.set _ZN2ck16tensor_operation6device12_GLOBAL__N_137kernel_grouped_conv_fwd_dl_multiple_dINS_32GridwiseGemmDlMultipleD_km_kn_mnILi256EDF16_fNS_5TupleIJDF16_EEEDF16_NS0_12element_wise11PassThroughES8_NS7_7AddReluELNS_25InMemoryDataOperationEnumE0ENS_16TensorDescriptorINS5_IJNS_5EmbedINS5_IJiiiiiEEESD_Lb0EEENS_11PassThroughIiEENS_3PadIiiiLb0EEESI_SI_SG_SG_NSC_INS5_IJiiEEESJ_Lb0EEESK_SK_SG_NS_23Merge_v2_magic_divisionINS5_IJiiiiEEEEESN_NS_8RightPadIiiLb0EEESP_NS_7UnMergeISJ_Lb0EEESG_EEENS5_IJNS_8SequenceIJLi0EEEENST_IJLi1EEEENST_IJLi2EEEENST_IJLi3EEEENST_IJLi4EEEENST_IJLi5EEEENST_IJLi6EEEENST_IJLi7EEEENST_IJLi8EEEENST_IJLi9EEEENST_IJLi10EEEENST_IJLi11ELi13ELi15ELi17EEEENST_IJLi12ELi14ELi16ELi18EEEENST_IJLi19EEEENST_IJLi20EEEENST_IJLi22EEEENST_IJLi21EEEEEEENS5_IJNST_IJLi1ELi2ELi3ELi4ELi5EEEES10_S11_S12_S13_S14_NST_IJLi11EEEENST_IJLi12ELi13EEEENST_IJLi14ELi15EEEENST_IJLi16ELi17EEEENST_IJLi18EEEES17_S18_S1A_S19_NST_IJLi23ELi24EEEENST_IJLi25EEEEEEENST_IJLi23ELi25ELi24EEEElEENSB_INS5_IJSR_SP_SP_SR_SG_EEENS5_IJSU_SV_SW_SY_SX_EEENS5_IJNST_IJLi1ELi2EEEESX_SY_NST_IJLi5ELi6EEEES11_EEENST_IJLi5ELi7ELi6EEEElEENSB_INS5_IJSK_SP_SP_EEENS5_IJSU_SV_SW_EEENS5_IJS1P_SX_SY_EEENST_IJLi3ELi4EEEElEELi128ELi128ELi16ELi2ELi4ELi4ELi1ENST_IJLi8ELi2EEEES1Z_NST_IJLi8ELi1ELi1ELi2EEEENST_IJLi2ELi1ELi128ELi1EEEENST_IJLi1ELi2ELi0ELi3EEEES22_NST_IJLi4ELi1ELi1ELi2EEEES22_NST_IJLi1ELi1ELi1ELi2EEEES20_S21_S22_S22_S23_S22_S24_NST_IJLi0ELi1ELi2ELi3ELi4ELi5EEEELi5ELi4EEEDF16_NS5_IJPKDF16_EEEDF16_S8_S8_S9_NSB_INS5_IJSE_SG_SI_SI_SI_SG_SG_SK_SK_SK_SG_SN_SN_SP_SP_SR_SG_SG_NSQ_INS5_IJiNS_17integral_constantIiLi128EEEEEELb0EEENSF_INS2A_IiLi2EEEEEEEENS5_IJSU_SV_SW_SX_SY_SZ_S10_S11_S12_S13_S14_S15_S16_S17_S18_S19_S1A_NST_IJLi23EEEES1J_NST_IJLi24EEEEEEENS5_IJS1C_S10_S11_S12_S13_S14_S1D_S1E_S1F_S1G_S1H_S17_S18_S1A_S19_S1I_S1J_NST_IJLi26EEEENST_IJLi27ELi28EEEENST_IJLi29EEEEEEENST_IJLi26ELi27ELi28ELi29EEEElEENSB_INS5_IJSR_SP_SP_SR_SG_SG_S2D_S2F_EEENS5_IJSU_SV_SW_SY_SX_SZ_S11_S10_EEENS5_IJS1P_SX_SY_S1Q_S11_S12_NST_IJLi9ELi10EEEES1D_EEENST_IJLi8ELi9ELi10ELi11EEEElEENS5_IJNSB_INS5_IJSK_SP_SP_NSQ_INS5_IJiS2E_NS2A_IiLi64EEEEEELb0EEES2Y_EEENS5_IJSU_SV_SW_SX_SY_EEENS5_IJS1P_SX_SY_NST_IJLi5ELi6ELi7EEEENST_IJLi8ELi9ELi10EEEEEEENST_IJLi5ELi6ELi7ELi8ELi9ELi10EEEElEEEEES35_NS_31BlockToCTileMap_M00_N00_M01_N01ILi128ELi128ES1Y_Lb0EEENS1_30ComputePtrOffsetOfStridedBatchILi1ELi1ELi1EvEELb0ELb0EEEvPKT0_S3D_T1_PT2_T3_T4_T5_iT6_T7_T8_T9_T10_T11_.num_named_barrier, 0
	.set _ZN2ck16tensor_operation6device12_GLOBAL__N_137kernel_grouped_conv_fwd_dl_multiple_dINS_32GridwiseGemmDlMultipleD_km_kn_mnILi256EDF16_fNS_5TupleIJDF16_EEEDF16_NS0_12element_wise11PassThroughES8_NS7_7AddReluELNS_25InMemoryDataOperationEnumE0ENS_16TensorDescriptorINS5_IJNS_5EmbedINS5_IJiiiiiEEESD_Lb0EEENS_11PassThroughIiEENS_3PadIiiiLb0EEESI_SI_SG_SG_NSC_INS5_IJiiEEESJ_Lb0EEESK_SK_SG_NS_23Merge_v2_magic_divisionINS5_IJiiiiEEEEESN_NS_8RightPadIiiLb0EEESP_NS_7UnMergeISJ_Lb0EEESG_EEENS5_IJNS_8SequenceIJLi0EEEENST_IJLi1EEEENST_IJLi2EEEENST_IJLi3EEEENST_IJLi4EEEENST_IJLi5EEEENST_IJLi6EEEENST_IJLi7EEEENST_IJLi8EEEENST_IJLi9EEEENST_IJLi10EEEENST_IJLi11ELi13ELi15ELi17EEEENST_IJLi12ELi14ELi16ELi18EEEENST_IJLi19EEEENST_IJLi20EEEENST_IJLi22EEEENST_IJLi21EEEEEEENS5_IJNST_IJLi1ELi2ELi3ELi4ELi5EEEES10_S11_S12_S13_S14_NST_IJLi11EEEENST_IJLi12ELi13EEEENST_IJLi14ELi15EEEENST_IJLi16ELi17EEEENST_IJLi18EEEES17_S18_S1A_S19_NST_IJLi23ELi24EEEENST_IJLi25EEEEEEENST_IJLi23ELi25ELi24EEEElEENSB_INS5_IJSR_SP_SP_SR_SG_EEENS5_IJSU_SV_SW_SY_SX_EEENS5_IJNST_IJLi1ELi2EEEESX_SY_NST_IJLi5ELi6EEEES11_EEENST_IJLi5ELi7ELi6EEEElEENSB_INS5_IJSK_SP_SP_EEENS5_IJSU_SV_SW_EEENS5_IJS1P_SX_SY_EEENST_IJLi3ELi4EEEElEELi128ELi128ELi16ELi2ELi4ELi4ELi1ENST_IJLi8ELi2EEEES1Z_NST_IJLi8ELi1ELi1ELi2EEEENST_IJLi2ELi1ELi128ELi1EEEENST_IJLi1ELi2ELi0ELi3EEEES22_NST_IJLi4ELi1ELi1ELi2EEEES22_NST_IJLi1ELi1ELi1ELi2EEEES20_S21_S22_S22_S23_S22_S24_NST_IJLi0ELi1ELi2ELi3ELi4ELi5EEEELi5ELi4EEEDF16_NS5_IJPKDF16_EEEDF16_S8_S8_S9_NSB_INS5_IJSE_SG_SI_SI_SI_SG_SG_SK_SK_SK_SG_SN_SN_SP_SP_SR_SG_SG_NSQ_INS5_IJiNS_17integral_constantIiLi128EEEEEELb0EEENSF_INS2A_IiLi2EEEEEEEENS5_IJSU_SV_SW_SX_SY_SZ_S10_S11_S12_S13_S14_S15_S16_S17_S18_S19_S1A_NST_IJLi23EEEES1J_NST_IJLi24EEEEEEENS5_IJS1C_S10_S11_S12_S13_S14_S1D_S1E_S1F_S1G_S1H_S17_S18_S1A_S19_S1I_S1J_NST_IJLi26EEEENST_IJLi27ELi28EEEENST_IJLi29EEEEEEENST_IJLi26ELi27ELi28ELi29EEEElEENSB_INS5_IJSR_SP_SP_SR_SG_SG_S2D_S2F_EEENS5_IJSU_SV_SW_SY_SX_SZ_S11_S10_EEENS5_IJS1P_SX_SY_S1Q_S11_S12_NST_IJLi9ELi10EEEES1D_EEENST_IJLi8ELi9ELi10ELi11EEEElEENS5_IJNSB_INS5_IJSK_SP_SP_NSQ_INS5_IJiS2E_NS2A_IiLi64EEEEEELb0EEES2Y_EEENS5_IJSU_SV_SW_SX_SY_EEENS5_IJS1P_SX_SY_NST_IJLi5ELi6ELi7EEEENST_IJLi8ELi9ELi10EEEEEEENST_IJLi5ELi6ELi7ELi8ELi9ELi10EEEElEEEEES35_NS_31BlockToCTileMap_M00_N00_M01_N01ILi128ELi128ES1Y_Lb0EEENS1_30ComputePtrOffsetOfStridedBatchILi1ELi1ELi1EvEELb0ELb0EEEvPKT0_S3D_T1_PT2_T3_T4_T5_iT6_T7_T8_T9_T10_T11_.private_seg_size, 0
	.set _ZN2ck16tensor_operation6device12_GLOBAL__N_137kernel_grouped_conv_fwd_dl_multiple_dINS_32GridwiseGemmDlMultipleD_km_kn_mnILi256EDF16_fNS_5TupleIJDF16_EEEDF16_NS0_12element_wise11PassThroughES8_NS7_7AddReluELNS_25InMemoryDataOperationEnumE0ENS_16TensorDescriptorINS5_IJNS_5EmbedINS5_IJiiiiiEEESD_Lb0EEENS_11PassThroughIiEENS_3PadIiiiLb0EEESI_SI_SG_SG_NSC_INS5_IJiiEEESJ_Lb0EEESK_SK_SG_NS_23Merge_v2_magic_divisionINS5_IJiiiiEEEEESN_NS_8RightPadIiiLb0EEESP_NS_7UnMergeISJ_Lb0EEESG_EEENS5_IJNS_8SequenceIJLi0EEEENST_IJLi1EEEENST_IJLi2EEEENST_IJLi3EEEENST_IJLi4EEEENST_IJLi5EEEENST_IJLi6EEEENST_IJLi7EEEENST_IJLi8EEEENST_IJLi9EEEENST_IJLi10EEEENST_IJLi11ELi13ELi15ELi17EEEENST_IJLi12ELi14ELi16ELi18EEEENST_IJLi19EEEENST_IJLi20EEEENST_IJLi22EEEENST_IJLi21EEEEEEENS5_IJNST_IJLi1ELi2ELi3ELi4ELi5EEEES10_S11_S12_S13_S14_NST_IJLi11EEEENST_IJLi12ELi13EEEENST_IJLi14ELi15EEEENST_IJLi16ELi17EEEENST_IJLi18EEEES17_S18_S1A_S19_NST_IJLi23ELi24EEEENST_IJLi25EEEEEEENST_IJLi23ELi25ELi24EEEElEENSB_INS5_IJSR_SP_SP_SR_SG_EEENS5_IJSU_SV_SW_SY_SX_EEENS5_IJNST_IJLi1ELi2EEEESX_SY_NST_IJLi5ELi6EEEES11_EEENST_IJLi5ELi7ELi6EEEElEENSB_INS5_IJSK_SP_SP_EEENS5_IJSU_SV_SW_EEENS5_IJS1P_SX_SY_EEENST_IJLi3ELi4EEEElEELi128ELi128ELi16ELi2ELi4ELi4ELi1ENST_IJLi8ELi2EEEES1Z_NST_IJLi8ELi1ELi1ELi2EEEENST_IJLi2ELi1ELi128ELi1EEEENST_IJLi1ELi2ELi0ELi3EEEES22_NST_IJLi4ELi1ELi1ELi2EEEES22_NST_IJLi1ELi1ELi1ELi2EEEES20_S21_S22_S22_S23_S22_S24_NST_IJLi0ELi1ELi2ELi3ELi4ELi5EEEELi5ELi4EEEDF16_NS5_IJPKDF16_EEEDF16_S8_S8_S9_NSB_INS5_IJSE_SG_SI_SI_SI_SG_SG_SK_SK_SK_SG_SN_SN_SP_SP_SR_SG_SG_NSQ_INS5_IJiNS_17integral_constantIiLi128EEEEEELb0EEENSF_INS2A_IiLi2EEEEEEEENS5_IJSU_SV_SW_SX_SY_SZ_S10_S11_S12_S13_S14_S15_S16_S17_S18_S19_S1A_NST_IJLi23EEEES1J_NST_IJLi24EEEEEEENS5_IJS1C_S10_S11_S12_S13_S14_S1D_S1E_S1F_S1G_S1H_S17_S18_S1A_S19_S1I_S1J_NST_IJLi26EEEENST_IJLi27ELi28EEEENST_IJLi29EEEEEEENST_IJLi26ELi27ELi28ELi29EEEElEENSB_INS5_IJSR_SP_SP_SR_SG_SG_S2D_S2F_EEENS5_IJSU_SV_SW_SY_SX_SZ_S11_S10_EEENS5_IJS1P_SX_SY_S1Q_S11_S12_NST_IJLi9ELi10EEEES1D_EEENST_IJLi8ELi9ELi10ELi11EEEElEENS5_IJNSB_INS5_IJSK_SP_SP_NSQ_INS5_IJiS2E_NS2A_IiLi64EEEEEELb0EEES2Y_EEENS5_IJSU_SV_SW_SX_SY_EEENS5_IJS1P_SX_SY_NST_IJLi5ELi6ELi7EEEENST_IJLi8ELi9ELi10EEEEEEENST_IJLi5ELi6ELi7ELi8ELi9ELi10EEEElEEEEES35_NS_31BlockToCTileMap_M00_N00_M01_N01ILi128ELi128ES1Y_Lb0EEENS1_30ComputePtrOffsetOfStridedBatchILi1ELi1ELi1EvEELb0ELb0EEEvPKT0_S3D_T1_PT2_T3_T4_T5_iT6_T7_T8_T9_T10_T11_.uses_vcc, 1
	.set _ZN2ck16tensor_operation6device12_GLOBAL__N_137kernel_grouped_conv_fwd_dl_multiple_dINS_32GridwiseGemmDlMultipleD_km_kn_mnILi256EDF16_fNS_5TupleIJDF16_EEEDF16_NS0_12element_wise11PassThroughES8_NS7_7AddReluELNS_25InMemoryDataOperationEnumE0ENS_16TensorDescriptorINS5_IJNS_5EmbedINS5_IJiiiiiEEESD_Lb0EEENS_11PassThroughIiEENS_3PadIiiiLb0EEESI_SI_SG_SG_NSC_INS5_IJiiEEESJ_Lb0EEESK_SK_SG_NS_23Merge_v2_magic_divisionINS5_IJiiiiEEEEESN_NS_8RightPadIiiLb0EEESP_NS_7UnMergeISJ_Lb0EEESG_EEENS5_IJNS_8SequenceIJLi0EEEENST_IJLi1EEEENST_IJLi2EEEENST_IJLi3EEEENST_IJLi4EEEENST_IJLi5EEEENST_IJLi6EEEENST_IJLi7EEEENST_IJLi8EEEENST_IJLi9EEEENST_IJLi10EEEENST_IJLi11ELi13ELi15ELi17EEEENST_IJLi12ELi14ELi16ELi18EEEENST_IJLi19EEEENST_IJLi20EEEENST_IJLi22EEEENST_IJLi21EEEEEEENS5_IJNST_IJLi1ELi2ELi3ELi4ELi5EEEES10_S11_S12_S13_S14_NST_IJLi11EEEENST_IJLi12ELi13EEEENST_IJLi14ELi15EEEENST_IJLi16ELi17EEEENST_IJLi18EEEES17_S18_S1A_S19_NST_IJLi23ELi24EEEENST_IJLi25EEEEEEENST_IJLi23ELi25ELi24EEEElEENSB_INS5_IJSR_SP_SP_SR_SG_EEENS5_IJSU_SV_SW_SY_SX_EEENS5_IJNST_IJLi1ELi2EEEESX_SY_NST_IJLi5ELi6EEEES11_EEENST_IJLi5ELi7ELi6EEEElEENSB_INS5_IJSK_SP_SP_EEENS5_IJSU_SV_SW_EEENS5_IJS1P_SX_SY_EEENST_IJLi3ELi4EEEElEELi128ELi128ELi16ELi2ELi4ELi4ELi1ENST_IJLi8ELi2EEEES1Z_NST_IJLi8ELi1ELi1ELi2EEEENST_IJLi2ELi1ELi128ELi1EEEENST_IJLi1ELi2ELi0ELi3EEEES22_NST_IJLi4ELi1ELi1ELi2EEEES22_NST_IJLi1ELi1ELi1ELi2EEEES20_S21_S22_S22_S23_S22_S24_NST_IJLi0ELi1ELi2ELi3ELi4ELi5EEEELi5ELi4EEEDF16_NS5_IJPKDF16_EEEDF16_S8_S8_S9_NSB_INS5_IJSE_SG_SI_SI_SI_SG_SG_SK_SK_SK_SG_SN_SN_SP_SP_SR_SG_SG_NSQ_INS5_IJiNS_17integral_constantIiLi128EEEEEELb0EEENSF_INS2A_IiLi2EEEEEEEENS5_IJSU_SV_SW_SX_SY_SZ_S10_S11_S12_S13_S14_S15_S16_S17_S18_S19_S1A_NST_IJLi23EEEES1J_NST_IJLi24EEEEEEENS5_IJS1C_S10_S11_S12_S13_S14_S1D_S1E_S1F_S1G_S1H_S17_S18_S1A_S19_S1I_S1J_NST_IJLi26EEEENST_IJLi27ELi28EEEENST_IJLi29EEEEEEENST_IJLi26ELi27ELi28ELi29EEEElEENSB_INS5_IJSR_SP_SP_SR_SG_SG_S2D_S2F_EEENS5_IJSU_SV_SW_SY_SX_SZ_S11_S10_EEENS5_IJS1P_SX_SY_S1Q_S11_S12_NST_IJLi9ELi10EEEES1D_EEENST_IJLi8ELi9ELi10ELi11EEEElEENS5_IJNSB_INS5_IJSK_SP_SP_NSQ_INS5_IJiS2E_NS2A_IiLi64EEEEEELb0EEES2Y_EEENS5_IJSU_SV_SW_SX_SY_EEENS5_IJS1P_SX_SY_NST_IJLi5ELi6ELi7EEEENST_IJLi8ELi9ELi10EEEEEEENST_IJLi5ELi6ELi7ELi8ELi9ELi10EEEElEEEEES35_NS_31BlockToCTileMap_M00_N00_M01_N01ILi128ELi128ES1Y_Lb0EEENS1_30ComputePtrOffsetOfStridedBatchILi1ELi1ELi1EvEELb0ELb0EEEvPKT0_S3D_T1_PT2_T3_T4_T5_iT6_T7_T8_T9_T10_T11_.uses_flat_scratch, 0
	.set _ZN2ck16tensor_operation6device12_GLOBAL__N_137kernel_grouped_conv_fwd_dl_multiple_dINS_32GridwiseGemmDlMultipleD_km_kn_mnILi256EDF16_fNS_5TupleIJDF16_EEEDF16_NS0_12element_wise11PassThroughES8_NS7_7AddReluELNS_25InMemoryDataOperationEnumE0ENS_16TensorDescriptorINS5_IJNS_5EmbedINS5_IJiiiiiEEESD_Lb0EEENS_11PassThroughIiEENS_3PadIiiiLb0EEESI_SI_SG_SG_NSC_INS5_IJiiEEESJ_Lb0EEESK_SK_SG_NS_23Merge_v2_magic_divisionINS5_IJiiiiEEEEESN_NS_8RightPadIiiLb0EEESP_NS_7UnMergeISJ_Lb0EEESG_EEENS5_IJNS_8SequenceIJLi0EEEENST_IJLi1EEEENST_IJLi2EEEENST_IJLi3EEEENST_IJLi4EEEENST_IJLi5EEEENST_IJLi6EEEENST_IJLi7EEEENST_IJLi8EEEENST_IJLi9EEEENST_IJLi10EEEENST_IJLi11ELi13ELi15ELi17EEEENST_IJLi12ELi14ELi16ELi18EEEENST_IJLi19EEEENST_IJLi20EEEENST_IJLi22EEEENST_IJLi21EEEEEEENS5_IJNST_IJLi1ELi2ELi3ELi4ELi5EEEES10_S11_S12_S13_S14_NST_IJLi11EEEENST_IJLi12ELi13EEEENST_IJLi14ELi15EEEENST_IJLi16ELi17EEEENST_IJLi18EEEES17_S18_S1A_S19_NST_IJLi23ELi24EEEENST_IJLi25EEEEEEENST_IJLi23ELi25ELi24EEEElEENSB_INS5_IJSR_SP_SP_SR_SG_EEENS5_IJSU_SV_SW_SY_SX_EEENS5_IJNST_IJLi1ELi2EEEESX_SY_NST_IJLi5ELi6EEEES11_EEENST_IJLi5ELi7ELi6EEEElEENSB_INS5_IJSK_SP_SP_EEENS5_IJSU_SV_SW_EEENS5_IJS1P_SX_SY_EEENST_IJLi3ELi4EEEElEELi128ELi128ELi16ELi2ELi4ELi4ELi1ENST_IJLi8ELi2EEEES1Z_NST_IJLi8ELi1ELi1ELi2EEEENST_IJLi2ELi1ELi128ELi1EEEENST_IJLi1ELi2ELi0ELi3EEEES22_NST_IJLi4ELi1ELi1ELi2EEEES22_NST_IJLi1ELi1ELi1ELi2EEEES20_S21_S22_S22_S23_S22_S24_NST_IJLi0ELi1ELi2ELi3ELi4ELi5EEEELi5ELi4EEEDF16_NS5_IJPKDF16_EEEDF16_S8_S8_S9_NSB_INS5_IJSE_SG_SI_SI_SI_SG_SG_SK_SK_SK_SG_SN_SN_SP_SP_SR_SG_SG_NSQ_INS5_IJiNS_17integral_constantIiLi128EEEEEELb0EEENSF_INS2A_IiLi2EEEEEEEENS5_IJSU_SV_SW_SX_SY_SZ_S10_S11_S12_S13_S14_S15_S16_S17_S18_S19_S1A_NST_IJLi23EEEES1J_NST_IJLi24EEEEEEENS5_IJS1C_S10_S11_S12_S13_S14_S1D_S1E_S1F_S1G_S1H_S17_S18_S1A_S19_S1I_S1J_NST_IJLi26EEEENST_IJLi27ELi28EEEENST_IJLi29EEEEEEENST_IJLi26ELi27ELi28ELi29EEEElEENSB_INS5_IJSR_SP_SP_SR_SG_SG_S2D_S2F_EEENS5_IJSU_SV_SW_SY_SX_SZ_S11_S10_EEENS5_IJS1P_SX_SY_S1Q_S11_S12_NST_IJLi9ELi10EEEES1D_EEENST_IJLi8ELi9ELi10ELi11EEEElEENS5_IJNSB_INS5_IJSK_SP_SP_NSQ_INS5_IJiS2E_NS2A_IiLi64EEEEEELb0EEES2Y_EEENS5_IJSU_SV_SW_SX_SY_EEENS5_IJS1P_SX_SY_NST_IJLi5ELi6ELi7EEEENST_IJLi8ELi9ELi10EEEEEEENST_IJLi5ELi6ELi7ELi8ELi9ELi10EEEElEEEEES35_NS_31BlockToCTileMap_M00_N00_M01_N01ILi128ELi128ES1Y_Lb0EEENS1_30ComputePtrOffsetOfStridedBatchILi1ELi1ELi1EvEELb0ELb0EEEvPKT0_S3D_T1_PT2_T3_T4_T5_iT6_T7_T8_T9_T10_T11_.has_dyn_sized_stack, 0
	.set _ZN2ck16tensor_operation6device12_GLOBAL__N_137kernel_grouped_conv_fwd_dl_multiple_dINS_32GridwiseGemmDlMultipleD_km_kn_mnILi256EDF16_fNS_5TupleIJDF16_EEEDF16_NS0_12element_wise11PassThroughES8_NS7_7AddReluELNS_25InMemoryDataOperationEnumE0ENS_16TensorDescriptorINS5_IJNS_5EmbedINS5_IJiiiiiEEESD_Lb0EEENS_11PassThroughIiEENS_3PadIiiiLb0EEESI_SI_SG_SG_NSC_INS5_IJiiEEESJ_Lb0EEESK_SK_SG_NS_23Merge_v2_magic_divisionINS5_IJiiiiEEEEESN_NS_8RightPadIiiLb0EEESP_NS_7UnMergeISJ_Lb0EEESG_EEENS5_IJNS_8SequenceIJLi0EEEENST_IJLi1EEEENST_IJLi2EEEENST_IJLi3EEEENST_IJLi4EEEENST_IJLi5EEEENST_IJLi6EEEENST_IJLi7EEEENST_IJLi8EEEENST_IJLi9EEEENST_IJLi10EEEENST_IJLi11ELi13ELi15ELi17EEEENST_IJLi12ELi14ELi16ELi18EEEENST_IJLi19EEEENST_IJLi20EEEENST_IJLi22EEEENST_IJLi21EEEEEEENS5_IJNST_IJLi1ELi2ELi3ELi4ELi5EEEES10_S11_S12_S13_S14_NST_IJLi11EEEENST_IJLi12ELi13EEEENST_IJLi14ELi15EEEENST_IJLi16ELi17EEEENST_IJLi18EEEES17_S18_S1A_S19_NST_IJLi23ELi24EEEENST_IJLi25EEEEEEENST_IJLi23ELi25ELi24EEEElEENSB_INS5_IJSR_SP_SP_SR_SG_EEENS5_IJSU_SV_SW_SY_SX_EEENS5_IJNST_IJLi1ELi2EEEESX_SY_NST_IJLi5ELi6EEEES11_EEENST_IJLi5ELi7ELi6EEEElEENSB_INS5_IJSK_SP_SP_EEENS5_IJSU_SV_SW_EEENS5_IJS1P_SX_SY_EEENST_IJLi3ELi4EEEElEELi128ELi128ELi16ELi2ELi4ELi4ELi1ENST_IJLi8ELi2EEEES1Z_NST_IJLi8ELi1ELi1ELi2EEEENST_IJLi2ELi1ELi128ELi1EEEENST_IJLi1ELi2ELi0ELi3EEEES22_NST_IJLi4ELi1ELi1ELi2EEEES22_NST_IJLi1ELi1ELi1ELi2EEEES20_S21_S22_S22_S23_S22_S24_NST_IJLi0ELi1ELi2ELi3ELi4ELi5EEEELi5ELi4EEEDF16_NS5_IJPKDF16_EEEDF16_S8_S8_S9_NSB_INS5_IJSE_SG_SI_SI_SI_SG_SG_SK_SK_SK_SG_SN_SN_SP_SP_SR_SG_SG_NSQ_INS5_IJiNS_17integral_constantIiLi128EEEEEELb0EEENSF_INS2A_IiLi2EEEEEEEENS5_IJSU_SV_SW_SX_SY_SZ_S10_S11_S12_S13_S14_S15_S16_S17_S18_S19_S1A_NST_IJLi23EEEES1J_NST_IJLi24EEEEEEENS5_IJS1C_S10_S11_S12_S13_S14_S1D_S1E_S1F_S1G_S1H_S17_S18_S1A_S19_S1I_S1J_NST_IJLi26EEEENST_IJLi27ELi28EEEENST_IJLi29EEEEEEENST_IJLi26ELi27ELi28ELi29EEEElEENSB_INS5_IJSR_SP_SP_SR_SG_SG_S2D_S2F_EEENS5_IJSU_SV_SW_SY_SX_SZ_S11_S10_EEENS5_IJS1P_SX_SY_S1Q_S11_S12_NST_IJLi9ELi10EEEES1D_EEENST_IJLi8ELi9ELi10ELi11EEEElEENS5_IJNSB_INS5_IJSK_SP_SP_NSQ_INS5_IJiS2E_NS2A_IiLi64EEEEEELb0EEES2Y_EEENS5_IJSU_SV_SW_SX_SY_EEENS5_IJS1P_SX_SY_NST_IJLi5ELi6ELi7EEEENST_IJLi8ELi9ELi10EEEEEEENST_IJLi5ELi6ELi7ELi8ELi9ELi10EEEElEEEEES35_NS_31BlockToCTileMap_M00_N00_M01_N01ILi128ELi128ES1Y_Lb0EEENS1_30ComputePtrOffsetOfStridedBatchILi1ELi1ELi1EvEELb0ELb0EEEvPKT0_S3D_T1_PT2_T3_T4_T5_iT6_T7_T8_T9_T10_T11_.has_recursion, 0
	.set _ZN2ck16tensor_operation6device12_GLOBAL__N_137kernel_grouped_conv_fwd_dl_multiple_dINS_32GridwiseGemmDlMultipleD_km_kn_mnILi256EDF16_fNS_5TupleIJDF16_EEEDF16_NS0_12element_wise11PassThroughES8_NS7_7AddReluELNS_25InMemoryDataOperationEnumE0ENS_16TensorDescriptorINS5_IJNS_5EmbedINS5_IJiiiiiEEESD_Lb0EEENS_11PassThroughIiEENS_3PadIiiiLb0EEESI_SI_SG_SG_NSC_INS5_IJiiEEESJ_Lb0EEESK_SK_SG_NS_23Merge_v2_magic_divisionINS5_IJiiiiEEEEESN_NS_8RightPadIiiLb0EEESP_NS_7UnMergeISJ_Lb0EEESG_EEENS5_IJNS_8SequenceIJLi0EEEENST_IJLi1EEEENST_IJLi2EEEENST_IJLi3EEEENST_IJLi4EEEENST_IJLi5EEEENST_IJLi6EEEENST_IJLi7EEEENST_IJLi8EEEENST_IJLi9EEEENST_IJLi10EEEENST_IJLi11ELi13ELi15ELi17EEEENST_IJLi12ELi14ELi16ELi18EEEENST_IJLi19EEEENST_IJLi20EEEENST_IJLi22EEEENST_IJLi21EEEEEEENS5_IJNST_IJLi1ELi2ELi3ELi4ELi5EEEES10_S11_S12_S13_S14_NST_IJLi11EEEENST_IJLi12ELi13EEEENST_IJLi14ELi15EEEENST_IJLi16ELi17EEEENST_IJLi18EEEES17_S18_S1A_S19_NST_IJLi23ELi24EEEENST_IJLi25EEEEEEENST_IJLi23ELi25ELi24EEEElEENSB_INS5_IJSR_SP_SP_SR_SG_EEENS5_IJSU_SV_SW_SY_SX_EEENS5_IJNST_IJLi1ELi2EEEESX_SY_NST_IJLi5ELi6EEEES11_EEENST_IJLi5ELi7ELi6EEEElEENSB_INS5_IJSK_SP_SP_EEENS5_IJSU_SV_SW_EEENS5_IJS1P_SX_SY_EEENST_IJLi3ELi4EEEElEELi128ELi128ELi16ELi2ELi4ELi4ELi1ENST_IJLi8ELi2EEEES1Z_NST_IJLi8ELi1ELi1ELi2EEEENST_IJLi2ELi1ELi128ELi1EEEENST_IJLi1ELi2ELi0ELi3EEEES22_NST_IJLi4ELi1ELi1ELi2EEEES22_NST_IJLi1ELi1ELi1ELi2EEEES20_S21_S22_S22_S23_S22_S24_NST_IJLi0ELi1ELi2ELi3ELi4ELi5EEEELi5ELi4EEEDF16_NS5_IJPKDF16_EEEDF16_S8_S8_S9_NSB_INS5_IJSE_SG_SI_SI_SI_SG_SG_SK_SK_SK_SG_SN_SN_SP_SP_SR_SG_SG_NSQ_INS5_IJiNS_17integral_constantIiLi128EEEEEELb0EEENSF_INS2A_IiLi2EEEEEEEENS5_IJSU_SV_SW_SX_SY_SZ_S10_S11_S12_S13_S14_S15_S16_S17_S18_S19_S1A_NST_IJLi23EEEES1J_NST_IJLi24EEEEEEENS5_IJS1C_S10_S11_S12_S13_S14_S1D_S1E_S1F_S1G_S1H_S17_S18_S1A_S19_S1I_S1J_NST_IJLi26EEEENST_IJLi27ELi28EEEENST_IJLi29EEEEEEENST_IJLi26ELi27ELi28ELi29EEEElEENSB_INS5_IJSR_SP_SP_SR_SG_SG_S2D_S2F_EEENS5_IJSU_SV_SW_SY_SX_SZ_S11_S10_EEENS5_IJS1P_SX_SY_S1Q_S11_S12_NST_IJLi9ELi10EEEES1D_EEENST_IJLi8ELi9ELi10ELi11EEEElEENS5_IJNSB_INS5_IJSK_SP_SP_NSQ_INS5_IJiS2E_NS2A_IiLi64EEEEEELb0EEES2Y_EEENS5_IJSU_SV_SW_SX_SY_EEENS5_IJS1P_SX_SY_NST_IJLi5ELi6ELi7EEEENST_IJLi8ELi9ELi10EEEEEEENST_IJLi5ELi6ELi7ELi8ELi9ELi10EEEElEEEEES35_NS_31BlockToCTileMap_M00_N00_M01_N01ILi128ELi128ES1Y_Lb0EEENS1_30ComputePtrOffsetOfStridedBatchILi1ELi1ELi1EvEELb0ELb0EEEvPKT0_S3D_T1_PT2_T3_T4_T5_iT6_T7_T8_T9_T10_T11_.has_indirect_call, 0
	.section	.AMDGPU.csdata,"",@progbits
; Kernel info:
; codeLenInByte = 9456
; TotalNumSgprs: 90
; NumVgprs: 94
; NumAgprs: 0
; TotalNumVgprs: 94
; ScratchSize: 0
; MemoryBound: 0
; FloatMode: 240
; IeeeMode: 1
; LDSByteSize: 32768 bytes/workgroup (compile time only)
; SGPRBlocks: 12
; VGPRBlocks: 11
; NumSGPRsForWavesPerEU: 102
; NumVGPRsForWavesPerEU: 94
; AccumOffset: 96
; Occupancy: 5
; WaveLimiterHint : 1
; COMPUTE_PGM_RSRC2:SCRATCH_EN: 0
; COMPUTE_PGM_RSRC2:USER_SGPR: 2
; COMPUTE_PGM_RSRC2:TRAP_HANDLER: 0
; COMPUTE_PGM_RSRC2:TGID_X_EN: 1
; COMPUTE_PGM_RSRC2:TGID_Y_EN: 0
; COMPUTE_PGM_RSRC2:TGID_Z_EN: 0
; COMPUTE_PGM_RSRC2:TIDIG_COMP_CNT: 0
; COMPUTE_PGM_RSRC3_GFX90A:ACCUM_OFFSET: 23
; COMPUTE_PGM_RSRC3_GFX90A:TG_SPLIT: 0
	.section	.AMDGPU.gpr_maximums,"",@progbits
	.set amdgpu.max_num_vgpr, 0
	.set amdgpu.max_num_agpr, 0
	.set amdgpu.max_num_sgpr, 0
	.section	.AMDGPU.csdata,"",@progbits
	.type	__hip_cuid_eb29b2e594af5f3,@object ; @__hip_cuid_eb29b2e594af5f3
	.section	.bss,"aw",@nobits
	.globl	__hip_cuid_eb29b2e594af5f3
__hip_cuid_eb29b2e594af5f3:
	.byte	0                               ; 0x0
	.size	__hip_cuid_eb29b2e594af5f3, 1

	.ident	"AMD clang version 22.0.0git (https://github.com/RadeonOpenCompute/llvm-project roc-7.2.4 26084 f58b06dce1f9c15707c5f808fd002e18c2accf7e)"
	.section	".note.GNU-stack","",@progbits
	.addrsig
	.addrsig_sym __hip_cuid_eb29b2e594af5f3
	.amdgpu_metadata
---
amdhsa.kernels:
  - .agpr_count:     0
    .args:           []
    .group_segment_fixed_size: 0
    .kernarg_segment_align: 4
    .kernarg_segment_size: 0
    .language:       OpenCL C
    .language_version:
      - 2
      - 0
    .max_flat_workgroup_size: 1024
    .name:           _ZN2ckL12flush_icacheEv
    .private_segment_fixed_size: 0
    .sgpr_count:     6
    .sgpr_spill_count: 0
    .symbol:         _ZN2ckL12flush_icacheEv.kd
    .uniform_work_group_size: 1
    .uses_dynamic_stack: false
    .vgpr_count:     0
    .vgpr_spill_count: 0
    .wavefront_size: 64
  - .agpr_count:     0
    .args:
      - .actual_access:  read_only
        .address_space:  global
        .offset:         0
        .size:           8
        .value_kind:     global_buffer
      - .actual_access:  read_only
        .address_space:  global
        .offset:         8
        .size:           8
        .value_kind:     global_buffer
      - .address_space:  global
        .offset:         16
        .size:           8
        .value_kind:     global_buffer
      - .actual_access:  write_only
        .address_space:  global
        .offset:         24
        .size:           8
        .value_kind:     global_buffer
      - .offset:         32
        .size:           1
        .value_kind:     by_value
      - .offset:         33
        .size:           1
        .value_kind:     by_value
      - .offset:         34
        .size:           1
        .value_kind:     by_value
      - .offset:         36
        .size:           4
        .value_kind:     by_value
      - .offset:         40
        .size:           200
        .value_kind:     by_value
      - .offset:         240
        .size:           96
        .value_kind:     by_value
      - .offset:         336
        .size:           80
        .value_kind:     by_value
      - .offset:         416
        .size:           80
        .value_kind:     by_value
      - .offset:         496
        .size:           112
        .value_kind:     by_value
      - .offset:         608
        .size:           40
        .value_kind:     by_value
      - .offset:         648
        .size:           4
        .value_kind:     hidden_block_count_x
      - .offset:         652
        .size:           4
        .value_kind:     hidden_block_count_y
      - .offset:         656
        .size:           4
        .value_kind:     hidden_block_count_z
      - .offset:         660
        .size:           2
        .value_kind:     hidden_group_size_x
      - .offset:         662
        .size:           2
        .value_kind:     hidden_group_size_y
      - .offset:         664
        .size:           2
        .value_kind:     hidden_group_size_z
      - .offset:         666
        .size:           2
        .value_kind:     hidden_remainder_x
      - .offset:         668
        .size:           2
        .value_kind:     hidden_remainder_y
      - .offset:         670
        .size:           2
        .value_kind:     hidden_remainder_z
      - .offset:         688
        .size:           8
        .value_kind:     hidden_global_offset_x
      - .offset:         696
        .size:           8
        .value_kind:     hidden_global_offset_y
      - .offset:         704
        .size:           8
        .value_kind:     hidden_global_offset_z
      - .offset:         712
        .size:           2
        .value_kind:     hidden_grid_dims
    .group_segment_fixed_size: 32768
    .kernarg_segment_align: 8
    .kernarg_segment_size: 904
    .language:       OpenCL C
    .language_version:
      - 2
      - 0
    .max_flat_workgroup_size: 256
    .name:           _ZN2ck16tensor_operation6device12_GLOBAL__N_137kernel_grouped_conv_fwd_dl_multiple_dINS_32GridwiseGemmDlMultipleD_km_kn_mnILi256EDF16_fNS_5TupleIJDF16_EEEDF16_NS0_12element_wise11PassThroughES8_NS7_7AddReluELNS_25InMemoryDataOperationEnumE0ENS_16TensorDescriptorINS5_IJNS_5EmbedINS5_IJiiiEEESD_Lb0EEENS_11PassThroughIiEENS_3PadIiiiLb0EEESG_SG_NSC_INS5_IJiiEEESJ_Lb0EEESG_NS_23Merge_v2_magic_divisionISJ_EESM_NS_8RightPadIiiLb0EEESO_NS_7UnMergeISJ_Lb0EEESG_EEENS5_IJNS_8SequenceIJLi0EEEENSS_IJLi1EEEENSS_IJLi2EEEENSS_IJLi3EEEENSS_IJLi4EEEENSS_IJLi5EEEENSS_IJLi6EEEENSS_IJLi7ELi9EEEENSS_IJLi8ELi10EEEENSS_IJLi11EEEENSS_IJLi12EEEENSS_IJLi14EEEENSS_IJLi13EEEEEEENS5_IJNSS_IJLi1ELi2ELi3EEEESX_SY_SZ_NSS_IJLi7EEEENSS_IJLi8ELi9EEEENSS_IJLi10EEEES12_S13_S15_S14_NSS_IJLi15ELi16EEEENSS_IJLi17EEEEEEENSS_IJLi15ELi17ELi16EEEElEENSB_INS5_IJSQ_SO_SO_SQ_SG_EEENS5_IJST_SU_SV_SX_SW_EEENS5_IJNSS_IJLi1ELi2EEEESW_SX_NSS_IJLi5ELi6EEEES18_EEENSS_IJLi5ELi7ELi6EEEElEENSB_INS5_IJSK_SO_SO_EEENS5_IJST_SU_SV_EEENS5_IJS1I_SW_SX_EEENSS_IJLi3ELi4EEEElEELi128ELi128ELi16ELi2ELi4ELi4ELi1ENSS_IJLi8ELi2EEEES1S_NSS_IJLi8ELi1ELi1ELi2EEEENSS_IJLi2ELi1ELi128ELi1EEEENSS_IJLi1ELi2ELi0ELi3EEEES1V_NSS_IJLi4ELi1ELi1ELi2EEEES1V_NSS_IJLi1ELi1ELi1ELi2EEEES1T_S1U_S1V_S1V_S1W_S1V_S1X_NSS_IJLi0ELi1ELi2ELi3ELi4ELi5EEEELi5ELi4EEEDF16_NS5_IJPKDF16_EEEDF16_S8_S8_S9_NSB_INS5_IJSE_SG_SI_SG_SG_SK_SG_SM_SM_SO_SO_SQ_SG_SG_NSP_INS5_IJiNS_17integral_constantIiLi128EEEEEELb0EEENSF_INS23_IiLi2EEEEEEEENS5_IJST_SU_SV_SW_SX_SY_SZ_S10_S11_S12_S13_S14_S15_NSS_IJLi15EEEES1C_NSS_IJLi16EEEEEEENS5_IJS17_SX_SY_SZ_S18_S19_S1A_S12_S13_S15_S14_S1B_S1C_NSS_IJLi18EEEENSS_IJLi19ELi20EEEENSS_IJLi21EEEEEEENSS_IJLi18ELi19ELi20ELi21EEEElEENSB_INS5_IJSQ_SO_SO_SQ_SG_SG_S26_S28_EEENS5_IJST_SU_SV_SX_SW_SY_S18_SZ_EEENS5_IJS1I_SW_SX_S1J_S18_NSS_IJLi8EEEENSS_IJLi9ELi10EEEES12_EEENSS_IJLi8ELi9ELi10ELi11EEEElEENS5_IJNSB_INS5_IJSK_SO_SO_NSP_INS5_IJiS27_NS23_IiLi64EEEEEELb0EEES2S_EEENS5_IJST_SU_SV_SW_SX_EEENS5_IJS1I_SW_SX_NSS_IJLi5ELi6ELi7EEEENSS_IJLi8ELi9ELi10EEEEEEENSS_IJLi5ELi6ELi7ELi8ELi9ELi10EEEElEEEEES2Z_NS_31BlockToCTileMap_M00_N00_M01_N01ILi128ELi128ES1R_Lb0EEENS1_30ComputePtrOffsetOfStridedBatchILi1ELi1ELi1EvEELb1ELb1EEEvPKT0_S37_T1_PT2_T3_T4_T5_iT6_T7_T8_T9_T10_T11_
    .private_segment_fixed_size: 0
    .sgpr_count:     70
    .sgpr_spill_count: 0
    .symbol:         _ZN2ck16tensor_operation6device12_GLOBAL__N_137kernel_grouped_conv_fwd_dl_multiple_dINS_32GridwiseGemmDlMultipleD_km_kn_mnILi256EDF16_fNS_5TupleIJDF16_EEEDF16_NS0_12element_wise11PassThroughES8_NS7_7AddReluELNS_25InMemoryDataOperationEnumE0ENS_16TensorDescriptorINS5_IJNS_5EmbedINS5_IJiiiEEESD_Lb0EEENS_11PassThroughIiEENS_3PadIiiiLb0EEESG_SG_NSC_INS5_IJiiEEESJ_Lb0EEESG_NS_23Merge_v2_magic_divisionISJ_EESM_NS_8RightPadIiiLb0EEESO_NS_7UnMergeISJ_Lb0EEESG_EEENS5_IJNS_8SequenceIJLi0EEEENSS_IJLi1EEEENSS_IJLi2EEEENSS_IJLi3EEEENSS_IJLi4EEEENSS_IJLi5EEEENSS_IJLi6EEEENSS_IJLi7ELi9EEEENSS_IJLi8ELi10EEEENSS_IJLi11EEEENSS_IJLi12EEEENSS_IJLi14EEEENSS_IJLi13EEEEEEENS5_IJNSS_IJLi1ELi2ELi3EEEESX_SY_SZ_NSS_IJLi7EEEENSS_IJLi8ELi9EEEENSS_IJLi10EEEES12_S13_S15_S14_NSS_IJLi15ELi16EEEENSS_IJLi17EEEEEEENSS_IJLi15ELi17ELi16EEEElEENSB_INS5_IJSQ_SO_SO_SQ_SG_EEENS5_IJST_SU_SV_SX_SW_EEENS5_IJNSS_IJLi1ELi2EEEESW_SX_NSS_IJLi5ELi6EEEES18_EEENSS_IJLi5ELi7ELi6EEEElEENSB_INS5_IJSK_SO_SO_EEENS5_IJST_SU_SV_EEENS5_IJS1I_SW_SX_EEENSS_IJLi3ELi4EEEElEELi128ELi128ELi16ELi2ELi4ELi4ELi1ENSS_IJLi8ELi2EEEES1S_NSS_IJLi8ELi1ELi1ELi2EEEENSS_IJLi2ELi1ELi128ELi1EEEENSS_IJLi1ELi2ELi0ELi3EEEES1V_NSS_IJLi4ELi1ELi1ELi2EEEES1V_NSS_IJLi1ELi1ELi1ELi2EEEES1T_S1U_S1V_S1V_S1W_S1V_S1X_NSS_IJLi0ELi1ELi2ELi3ELi4ELi5EEEELi5ELi4EEEDF16_NS5_IJPKDF16_EEEDF16_S8_S8_S9_NSB_INS5_IJSE_SG_SI_SG_SG_SK_SG_SM_SM_SO_SO_SQ_SG_SG_NSP_INS5_IJiNS_17integral_constantIiLi128EEEEEELb0EEENSF_INS23_IiLi2EEEEEEEENS5_IJST_SU_SV_SW_SX_SY_SZ_S10_S11_S12_S13_S14_S15_NSS_IJLi15EEEES1C_NSS_IJLi16EEEEEEENS5_IJS17_SX_SY_SZ_S18_S19_S1A_S12_S13_S15_S14_S1B_S1C_NSS_IJLi18EEEENSS_IJLi19ELi20EEEENSS_IJLi21EEEEEEENSS_IJLi18ELi19ELi20ELi21EEEElEENSB_INS5_IJSQ_SO_SO_SQ_SG_SG_S26_S28_EEENS5_IJST_SU_SV_SX_SW_SY_S18_SZ_EEENS5_IJS1I_SW_SX_S1J_S18_NSS_IJLi8EEEENSS_IJLi9ELi10EEEES12_EEENSS_IJLi8ELi9ELi10ELi11EEEElEENS5_IJNSB_INS5_IJSK_SO_SO_NSP_INS5_IJiS27_NS23_IiLi64EEEEEELb0EEES2S_EEENS5_IJST_SU_SV_SW_SX_EEENS5_IJS1I_SW_SX_NSS_IJLi5ELi6ELi7EEEENSS_IJLi8ELi9ELi10EEEEEEENSS_IJLi5ELi6ELi7ELi8ELi9ELi10EEEElEEEEES2Z_NS_31BlockToCTileMap_M00_N00_M01_N01ILi128ELi128ES1R_Lb0EEENS1_30ComputePtrOffsetOfStridedBatchILi1ELi1ELi1EvEELb1ELb1EEEvPKT0_S37_T1_PT2_T3_T4_T5_iT6_T7_T8_T9_T10_T11_.kd
    .uniform_work_group_size: 1
    .uses_dynamic_stack: false
    .vgpr_count:     126
    .vgpr_spill_count: 0
    .wavefront_size: 64
  - .agpr_count:     0
    .args:
      - .actual_access:  read_only
        .address_space:  global
        .offset:         0
        .size:           8
        .value_kind:     global_buffer
      - .actual_access:  read_only
        .address_space:  global
        .offset:         8
        .size:           8
        .value_kind:     global_buffer
      - .address_space:  global
        .offset:         16
        .size:           8
        .value_kind:     global_buffer
      - .actual_access:  write_only
        .address_space:  global
        .offset:         24
        .size:           8
        .value_kind:     global_buffer
      - .offset:         32
        .size:           1
        .value_kind:     by_value
      - .offset:         33
        .size:           1
        .value_kind:     by_value
      - .offset:         34
        .size:           1
        .value_kind:     by_value
      - .offset:         36
        .size:           4
        .value_kind:     by_value
      - .offset:         40
        .size:           200
        .value_kind:     by_value
      - .offset:         240
        .size:           96
        .value_kind:     by_value
      - .offset:         336
        .size:           80
        .value_kind:     by_value
      - .offset:         416
        .size:           80
        .value_kind:     by_value
      - .offset:         496
        .size:           112
        .value_kind:     by_value
      - .offset:         608
        .size:           40
        .value_kind:     by_value
      - .offset:         648
        .size:           4
        .value_kind:     hidden_block_count_x
      - .offset:         652
        .size:           4
        .value_kind:     hidden_block_count_y
      - .offset:         656
        .size:           4
        .value_kind:     hidden_block_count_z
      - .offset:         660
        .size:           2
        .value_kind:     hidden_group_size_x
      - .offset:         662
        .size:           2
        .value_kind:     hidden_group_size_y
      - .offset:         664
        .size:           2
        .value_kind:     hidden_group_size_z
      - .offset:         666
        .size:           2
        .value_kind:     hidden_remainder_x
      - .offset:         668
        .size:           2
        .value_kind:     hidden_remainder_y
      - .offset:         670
        .size:           2
        .value_kind:     hidden_remainder_z
      - .offset:         688
        .size:           8
        .value_kind:     hidden_global_offset_x
      - .offset:         696
        .size:           8
        .value_kind:     hidden_global_offset_y
      - .offset:         704
        .size:           8
        .value_kind:     hidden_global_offset_z
      - .offset:         712
        .size:           2
        .value_kind:     hidden_grid_dims
    .group_segment_fixed_size: 32768
    .kernarg_segment_align: 8
    .kernarg_segment_size: 904
    .language:       OpenCL C
    .language_version:
      - 2
      - 0
    .max_flat_workgroup_size: 256
    .name:           _ZN2ck16tensor_operation6device12_GLOBAL__N_137kernel_grouped_conv_fwd_dl_multiple_dINS_32GridwiseGemmDlMultipleD_km_kn_mnILi256EDF16_fNS_5TupleIJDF16_EEEDF16_NS0_12element_wise11PassThroughES8_NS7_7AddReluELNS_25InMemoryDataOperationEnumE0ENS_16TensorDescriptorINS5_IJNS_5EmbedINS5_IJiiiEEESD_Lb0EEENS_11PassThroughIiEENS_3PadIiiiLb0EEESG_SG_NSC_INS5_IJiiEEESJ_Lb0EEESG_NS_23Merge_v2_magic_divisionISJ_EESM_NS_8RightPadIiiLb0EEESO_NS_7UnMergeISJ_Lb0EEESG_EEENS5_IJNS_8SequenceIJLi0EEEENSS_IJLi1EEEENSS_IJLi2EEEENSS_IJLi3EEEENSS_IJLi4EEEENSS_IJLi5EEEENSS_IJLi6EEEENSS_IJLi7ELi9EEEENSS_IJLi8ELi10EEEENSS_IJLi11EEEENSS_IJLi12EEEENSS_IJLi14EEEENSS_IJLi13EEEEEEENS5_IJNSS_IJLi1ELi2ELi3EEEESX_SY_SZ_NSS_IJLi7EEEENSS_IJLi8ELi9EEEENSS_IJLi10EEEES12_S13_S15_S14_NSS_IJLi15ELi16EEEENSS_IJLi17EEEEEEENSS_IJLi15ELi17ELi16EEEElEENSB_INS5_IJSQ_SO_SO_SQ_SG_EEENS5_IJST_SU_SV_SX_SW_EEENS5_IJNSS_IJLi1ELi2EEEESW_SX_NSS_IJLi5ELi6EEEES18_EEENSS_IJLi5ELi7ELi6EEEElEENSB_INS5_IJSK_SO_SO_EEENS5_IJST_SU_SV_EEENS5_IJS1I_SW_SX_EEENSS_IJLi3ELi4EEEElEELi128ELi128ELi16ELi2ELi4ELi4ELi1ENSS_IJLi8ELi2EEEES1S_NSS_IJLi8ELi1ELi1ELi2EEEENSS_IJLi2ELi1ELi128ELi1EEEENSS_IJLi1ELi2ELi0ELi3EEEES1V_NSS_IJLi4ELi1ELi1ELi2EEEES1V_NSS_IJLi1ELi1ELi1ELi2EEEES1T_S1U_S1V_S1V_S1W_S1V_S1X_NSS_IJLi0ELi1ELi2ELi3ELi4ELi5EEEELi5ELi4EEEDF16_NS5_IJPKDF16_EEEDF16_S8_S8_S9_NSB_INS5_IJSE_SG_SI_SG_SG_SK_SG_SM_SM_SO_SO_SQ_SG_SG_NSP_INS5_IJiNS_17integral_constantIiLi128EEEEEELb0EEENSF_INS23_IiLi2EEEEEEEENS5_IJST_SU_SV_SW_SX_SY_SZ_S10_S11_S12_S13_S14_S15_NSS_IJLi15EEEES1C_NSS_IJLi16EEEEEEENS5_IJS17_SX_SY_SZ_S18_S19_S1A_S12_S13_S15_S14_S1B_S1C_NSS_IJLi18EEEENSS_IJLi19ELi20EEEENSS_IJLi21EEEEEEENSS_IJLi18ELi19ELi20ELi21EEEElEENSB_INS5_IJSQ_SO_SO_SQ_SG_SG_S26_S28_EEENS5_IJST_SU_SV_SX_SW_SY_S18_SZ_EEENS5_IJS1I_SW_SX_S1J_S18_NSS_IJLi8EEEENSS_IJLi9ELi10EEEES12_EEENSS_IJLi8ELi9ELi10ELi11EEEElEENS5_IJNSB_INS5_IJSK_SO_SO_NSP_INS5_IJiS27_NS23_IiLi64EEEEEELb0EEES2S_EEENS5_IJST_SU_SV_SW_SX_EEENS5_IJS1I_SW_SX_NSS_IJLi5ELi6ELi7EEEENSS_IJLi8ELi9ELi10EEEEEEENSS_IJLi5ELi6ELi7ELi8ELi9ELi10EEEElEEEEES2Z_NS_31BlockToCTileMap_M00_N00_M01_N01ILi128ELi128ES1R_Lb0EEENS1_30ComputePtrOffsetOfStridedBatchILi1ELi1ELi1EvEELb1ELb0EEEvPKT0_S37_T1_PT2_T3_T4_T5_iT6_T7_T8_T9_T10_T11_
    .private_segment_fixed_size: 0
    .sgpr_count:     66
    .sgpr_spill_count: 0
    .symbol:         _ZN2ck16tensor_operation6device12_GLOBAL__N_137kernel_grouped_conv_fwd_dl_multiple_dINS_32GridwiseGemmDlMultipleD_km_kn_mnILi256EDF16_fNS_5TupleIJDF16_EEEDF16_NS0_12element_wise11PassThroughES8_NS7_7AddReluELNS_25InMemoryDataOperationEnumE0ENS_16TensorDescriptorINS5_IJNS_5EmbedINS5_IJiiiEEESD_Lb0EEENS_11PassThroughIiEENS_3PadIiiiLb0EEESG_SG_NSC_INS5_IJiiEEESJ_Lb0EEESG_NS_23Merge_v2_magic_divisionISJ_EESM_NS_8RightPadIiiLb0EEESO_NS_7UnMergeISJ_Lb0EEESG_EEENS5_IJNS_8SequenceIJLi0EEEENSS_IJLi1EEEENSS_IJLi2EEEENSS_IJLi3EEEENSS_IJLi4EEEENSS_IJLi5EEEENSS_IJLi6EEEENSS_IJLi7ELi9EEEENSS_IJLi8ELi10EEEENSS_IJLi11EEEENSS_IJLi12EEEENSS_IJLi14EEEENSS_IJLi13EEEEEEENS5_IJNSS_IJLi1ELi2ELi3EEEESX_SY_SZ_NSS_IJLi7EEEENSS_IJLi8ELi9EEEENSS_IJLi10EEEES12_S13_S15_S14_NSS_IJLi15ELi16EEEENSS_IJLi17EEEEEEENSS_IJLi15ELi17ELi16EEEElEENSB_INS5_IJSQ_SO_SO_SQ_SG_EEENS5_IJST_SU_SV_SX_SW_EEENS5_IJNSS_IJLi1ELi2EEEESW_SX_NSS_IJLi5ELi6EEEES18_EEENSS_IJLi5ELi7ELi6EEEElEENSB_INS5_IJSK_SO_SO_EEENS5_IJST_SU_SV_EEENS5_IJS1I_SW_SX_EEENSS_IJLi3ELi4EEEElEELi128ELi128ELi16ELi2ELi4ELi4ELi1ENSS_IJLi8ELi2EEEES1S_NSS_IJLi8ELi1ELi1ELi2EEEENSS_IJLi2ELi1ELi128ELi1EEEENSS_IJLi1ELi2ELi0ELi3EEEES1V_NSS_IJLi4ELi1ELi1ELi2EEEES1V_NSS_IJLi1ELi1ELi1ELi2EEEES1T_S1U_S1V_S1V_S1W_S1V_S1X_NSS_IJLi0ELi1ELi2ELi3ELi4ELi5EEEELi5ELi4EEEDF16_NS5_IJPKDF16_EEEDF16_S8_S8_S9_NSB_INS5_IJSE_SG_SI_SG_SG_SK_SG_SM_SM_SO_SO_SQ_SG_SG_NSP_INS5_IJiNS_17integral_constantIiLi128EEEEEELb0EEENSF_INS23_IiLi2EEEEEEEENS5_IJST_SU_SV_SW_SX_SY_SZ_S10_S11_S12_S13_S14_S15_NSS_IJLi15EEEES1C_NSS_IJLi16EEEEEEENS5_IJS17_SX_SY_SZ_S18_S19_S1A_S12_S13_S15_S14_S1B_S1C_NSS_IJLi18EEEENSS_IJLi19ELi20EEEENSS_IJLi21EEEEEEENSS_IJLi18ELi19ELi20ELi21EEEElEENSB_INS5_IJSQ_SO_SO_SQ_SG_SG_S26_S28_EEENS5_IJST_SU_SV_SX_SW_SY_S18_SZ_EEENS5_IJS1I_SW_SX_S1J_S18_NSS_IJLi8EEEENSS_IJLi9ELi10EEEES12_EEENSS_IJLi8ELi9ELi10ELi11EEEElEENS5_IJNSB_INS5_IJSK_SO_SO_NSP_INS5_IJiS27_NS23_IiLi64EEEEEELb0EEES2S_EEENS5_IJST_SU_SV_SW_SX_EEENS5_IJS1I_SW_SX_NSS_IJLi5ELi6ELi7EEEENSS_IJLi8ELi9ELi10EEEEEEENSS_IJLi5ELi6ELi7ELi8ELi9ELi10EEEElEEEEES2Z_NS_31BlockToCTileMap_M00_N00_M01_N01ILi128ELi128ES1R_Lb0EEENS1_30ComputePtrOffsetOfStridedBatchILi1ELi1ELi1EvEELb1ELb0EEEvPKT0_S37_T1_PT2_T3_T4_T5_iT6_T7_T8_T9_T10_T11_.kd
    .uniform_work_group_size: 1
    .uses_dynamic_stack: false
    .vgpr_count:     130
    .vgpr_spill_count: 0
    .wavefront_size: 64
  - .agpr_count:     0
    .args:
      - .actual_access:  read_only
        .address_space:  global
        .offset:         0
        .size:           8
        .value_kind:     global_buffer
      - .actual_access:  read_only
        .address_space:  global
        .offset:         8
        .size:           8
        .value_kind:     global_buffer
      - .address_space:  global
        .offset:         16
        .size:           8
        .value_kind:     global_buffer
      - .actual_access:  write_only
        .address_space:  global
        .offset:         24
        .size:           8
        .value_kind:     global_buffer
      - .offset:         32
        .size:           1
        .value_kind:     by_value
      - .offset:         33
        .size:           1
        .value_kind:     by_value
      - .offset:         34
        .size:           1
        .value_kind:     by_value
      - .offset:         36
        .size:           4
        .value_kind:     by_value
      - .offset:         40
        .size:           200
        .value_kind:     by_value
      - .offset:         240
        .size:           96
        .value_kind:     by_value
      - .offset:         336
        .size:           80
        .value_kind:     by_value
      - .offset:         416
        .size:           80
        .value_kind:     by_value
      - .offset:         496
        .size:           112
        .value_kind:     by_value
      - .offset:         608
        .size:           40
        .value_kind:     by_value
      - .offset:         648
        .size:           4
        .value_kind:     hidden_block_count_x
      - .offset:         652
        .size:           4
        .value_kind:     hidden_block_count_y
      - .offset:         656
        .size:           4
        .value_kind:     hidden_block_count_z
      - .offset:         660
        .size:           2
        .value_kind:     hidden_group_size_x
      - .offset:         662
        .size:           2
        .value_kind:     hidden_group_size_y
      - .offset:         664
        .size:           2
        .value_kind:     hidden_group_size_z
      - .offset:         666
        .size:           2
        .value_kind:     hidden_remainder_x
      - .offset:         668
        .size:           2
        .value_kind:     hidden_remainder_y
      - .offset:         670
        .size:           2
        .value_kind:     hidden_remainder_z
      - .offset:         688
        .size:           8
        .value_kind:     hidden_global_offset_x
      - .offset:         696
        .size:           8
        .value_kind:     hidden_global_offset_y
      - .offset:         704
        .size:           8
        .value_kind:     hidden_global_offset_z
      - .offset:         712
        .size:           2
        .value_kind:     hidden_grid_dims
    .group_segment_fixed_size: 32768
    .kernarg_segment_align: 8
    .kernarg_segment_size: 904
    .language:       OpenCL C
    .language_version:
      - 2
      - 0
    .max_flat_workgroup_size: 256
    .name:           _ZN2ck16tensor_operation6device12_GLOBAL__N_137kernel_grouped_conv_fwd_dl_multiple_dINS_32GridwiseGemmDlMultipleD_km_kn_mnILi256EDF16_fNS_5TupleIJDF16_EEEDF16_NS0_12element_wise11PassThroughES8_NS7_7AddReluELNS_25InMemoryDataOperationEnumE0ENS_16TensorDescriptorINS5_IJNS_5EmbedINS5_IJiiiEEESD_Lb0EEENS_11PassThroughIiEENS_3PadIiiiLb0EEESG_SG_NSC_INS5_IJiiEEESJ_Lb0EEESG_NS_23Merge_v2_magic_divisionISJ_EESM_NS_8RightPadIiiLb0EEESO_NS_7UnMergeISJ_Lb0EEESG_EEENS5_IJNS_8SequenceIJLi0EEEENSS_IJLi1EEEENSS_IJLi2EEEENSS_IJLi3EEEENSS_IJLi4EEEENSS_IJLi5EEEENSS_IJLi6EEEENSS_IJLi7ELi9EEEENSS_IJLi8ELi10EEEENSS_IJLi11EEEENSS_IJLi12EEEENSS_IJLi14EEEENSS_IJLi13EEEEEEENS5_IJNSS_IJLi1ELi2ELi3EEEESX_SY_SZ_NSS_IJLi7EEEENSS_IJLi8ELi9EEEENSS_IJLi10EEEES12_S13_S15_S14_NSS_IJLi15ELi16EEEENSS_IJLi17EEEEEEENSS_IJLi15ELi17ELi16EEEElEENSB_INS5_IJSQ_SO_SO_SQ_SG_EEENS5_IJST_SU_SV_SX_SW_EEENS5_IJNSS_IJLi1ELi2EEEESW_SX_NSS_IJLi5ELi6EEEES18_EEENSS_IJLi5ELi7ELi6EEEElEENSB_INS5_IJSK_SO_SO_EEENS5_IJST_SU_SV_EEENS5_IJS1I_SW_SX_EEENSS_IJLi3ELi4EEEElEELi128ELi128ELi16ELi2ELi4ELi4ELi1ENSS_IJLi8ELi2EEEES1S_NSS_IJLi8ELi1ELi1ELi2EEEENSS_IJLi2ELi1ELi128ELi1EEEENSS_IJLi1ELi2ELi0ELi3EEEES1V_NSS_IJLi4ELi1ELi1ELi2EEEES1V_NSS_IJLi1ELi1ELi1ELi2EEEES1T_S1U_S1V_S1V_S1W_S1V_S1X_NSS_IJLi0ELi1ELi2ELi3ELi4ELi5EEEELi5ELi4EEEDF16_NS5_IJPKDF16_EEEDF16_S8_S8_S9_NSB_INS5_IJSE_SG_SI_SG_SG_SK_SG_SM_SM_SO_SO_SQ_SG_SG_NSP_INS5_IJiNS_17integral_constantIiLi128EEEEEELb0EEENSF_INS23_IiLi2EEEEEEEENS5_IJST_SU_SV_SW_SX_SY_SZ_S10_S11_S12_S13_S14_S15_NSS_IJLi15EEEES1C_NSS_IJLi16EEEEEEENS5_IJS17_SX_SY_SZ_S18_S19_S1A_S12_S13_S15_S14_S1B_S1C_NSS_IJLi18EEEENSS_IJLi19ELi20EEEENSS_IJLi21EEEEEEENSS_IJLi18ELi19ELi20ELi21EEEElEENSB_INS5_IJSQ_SO_SO_SQ_SG_SG_S26_S28_EEENS5_IJST_SU_SV_SX_SW_SY_S18_SZ_EEENS5_IJS1I_SW_SX_S1J_S18_NSS_IJLi8EEEENSS_IJLi9ELi10EEEES12_EEENSS_IJLi8ELi9ELi10ELi11EEEElEENS5_IJNSB_INS5_IJSK_SO_SO_NSP_INS5_IJiS27_NS23_IiLi64EEEEEELb0EEES2S_EEENS5_IJST_SU_SV_SW_SX_EEENS5_IJS1I_SW_SX_NSS_IJLi5ELi6ELi7EEEENSS_IJLi8ELi9ELi10EEEEEEENSS_IJLi5ELi6ELi7ELi8ELi9ELi10EEEElEEEEES2Z_NS_31BlockToCTileMap_M00_N00_M01_N01ILi128ELi128ES1R_Lb0EEENS1_30ComputePtrOffsetOfStridedBatchILi1ELi1ELi1EvEELb0ELb1EEEvPKT0_S37_T1_PT2_T3_T4_T5_iT6_T7_T8_T9_T10_T11_
    .private_segment_fixed_size: 0
    .sgpr_count:     71
    .sgpr_spill_count: 0
    .symbol:         _ZN2ck16tensor_operation6device12_GLOBAL__N_137kernel_grouped_conv_fwd_dl_multiple_dINS_32GridwiseGemmDlMultipleD_km_kn_mnILi256EDF16_fNS_5TupleIJDF16_EEEDF16_NS0_12element_wise11PassThroughES8_NS7_7AddReluELNS_25InMemoryDataOperationEnumE0ENS_16TensorDescriptorINS5_IJNS_5EmbedINS5_IJiiiEEESD_Lb0EEENS_11PassThroughIiEENS_3PadIiiiLb0EEESG_SG_NSC_INS5_IJiiEEESJ_Lb0EEESG_NS_23Merge_v2_magic_divisionISJ_EESM_NS_8RightPadIiiLb0EEESO_NS_7UnMergeISJ_Lb0EEESG_EEENS5_IJNS_8SequenceIJLi0EEEENSS_IJLi1EEEENSS_IJLi2EEEENSS_IJLi3EEEENSS_IJLi4EEEENSS_IJLi5EEEENSS_IJLi6EEEENSS_IJLi7ELi9EEEENSS_IJLi8ELi10EEEENSS_IJLi11EEEENSS_IJLi12EEEENSS_IJLi14EEEENSS_IJLi13EEEEEEENS5_IJNSS_IJLi1ELi2ELi3EEEESX_SY_SZ_NSS_IJLi7EEEENSS_IJLi8ELi9EEEENSS_IJLi10EEEES12_S13_S15_S14_NSS_IJLi15ELi16EEEENSS_IJLi17EEEEEEENSS_IJLi15ELi17ELi16EEEElEENSB_INS5_IJSQ_SO_SO_SQ_SG_EEENS5_IJST_SU_SV_SX_SW_EEENS5_IJNSS_IJLi1ELi2EEEESW_SX_NSS_IJLi5ELi6EEEES18_EEENSS_IJLi5ELi7ELi6EEEElEENSB_INS5_IJSK_SO_SO_EEENS5_IJST_SU_SV_EEENS5_IJS1I_SW_SX_EEENSS_IJLi3ELi4EEEElEELi128ELi128ELi16ELi2ELi4ELi4ELi1ENSS_IJLi8ELi2EEEES1S_NSS_IJLi8ELi1ELi1ELi2EEEENSS_IJLi2ELi1ELi128ELi1EEEENSS_IJLi1ELi2ELi0ELi3EEEES1V_NSS_IJLi4ELi1ELi1ELi2EEEES1V_NSS_IJLi1ELi1ELi1ELi2EEEES1T_S1U_S1V_S1V_S1W_S1V_S1X_NSS_IJLi0ELi1ELi2ELi3ELi4ELi5EEEELi5ELi4EEEDF16_NS5_IJPKDF16_EEEDF16_S8_S8_S9_NSB_INS5_IJSE_SG_SI_SG_SG_SK_SG_SM_SM_SO_SO_SQ_SG_SG_NSP_INS5_IJiNS_17integral_constantIiLi128EEEEEELb0EEENSF_INS23_IiLi2EEEEEEEENS5_IJST_SU_SV_SW_SX_SY_SZ_S10_S11_S12_S13_S14_S15_NSS_IJLi15EEEES1C_NSS_IJLi16EEEEEEENS5_IJS17_SX_SY_SZ_S18_S19_S1A_S12_S13_S15_S14_S1B_S1C_NSS_IJLi18EEEENSS_IJLi19ELi20EEEENSS_IJLi21EEEEEEENSS_IJLi18ELi19ELi20ELi21EEEElEENSB_INS5_IJSQ_SO_SO_SQ_SG_SG_S26_S28_EEENS5_IJST_SU_SV_SX_SW_SY_S18_SZ_EEENS5_IJS1I_SW_SX_S1J_S18_NSS_IJLi8EEEENSS_IJLi9ELi10EEEES12_EEENSS_IJLi8ELi9ELi10ELi11EEEElEENS5_IJNSB_INS5_IJSK_SO_SO_NSP_INS5_IJiS27_NS23_IiLi64EEEEEELb0EEES2S_EEENS5_IJST_SU_SV_SW_SX_EEENS5_IJS1I_SW_SX_NSS_IJLi5ELi6ELi7EEEENSS_IJLi8ELi9ELi10EEEEEEENSS_IJLi5ELi6ELi7ELi8ELi9ELi10EEEElEEEEES2Z_NS_31BlockToCTileMap_M00_N00_M01_N01ILi128ELi128ES1R_Lb0EEENS1_30ComputePtrOffsetOfStridedBatchILi1ELi1ELi1EvEELb0ELb1EEEvPKT0_S37_T1_PT2_T3_T4_T5_iT6_T7_T8_T9_T10_T11_.kd
    .uniform_work_group_size: 1
    .uses_dynamic_stack: false
    .vgpr_count:     101
    .vgpr_spill_count: 0
    .wavefront_size: 64
  - .agpr_count:     0
    .args:
      - .actual_access:  read_only
        .address_space:  global
        .offset:         0
        .size:           8
        .value_kind:     global_buffer
      - .actual_access:  read_only
        .address_space:  global
        .offset:         8
        .size:           8
        .value_kind:     global_buffer
      - .address_space:  global
        .offset:         16
        .size:           8
        .value_kind:     global_buffer
      - .actual_access:  write_only
        .address_space:  global
        .offset:         24
        .size:           8
        .value_kind:     global_buffer
      - .offset:         32
        .size:           1
        .value_kind:     by_value
      - .offset:         33
        .size:           1
        .value_kind:     by_value
      - .offset:         34
        .size:           1
        .value_kind:     by_value
      - .offset:         36
        .size:           4
        .value_kind:     by_value
      - .offset:         40
        .size:           200
        .value_kind:     by_value
      - .offset:         240
        .size:           96
        .value_kind:     by_value
      - .offset:         336
        .size:           80
        .value_kind:     by_value
      - .offset:         416
        .size:           80
        .value_kind:     by_value
      - .offset:         496
        .size:           112
        .value_kind:     by_value
      - .offset:         608
        .size:           40
        .value_kind:     by_value
      - .offset:         648
        .size:           4
        .value_kind:     hidden_block_count_x
      - .offset:         652
        .size:           4
        .value_kind:     hidden_block_count_y
      - .offset:         656
        .size:           4
        .value_kind:     hidden_block_count_z
      - .offset:         660
        .size:           2
        .value_kind:     hidden_group_size_x
      - .offset:         662
        .size:           2
        .value_kind:     hidden_group_size_y
      - .offset:         664
        .size:           2
        .value_kind:     hidden_group_size_z
      - .offset:         666
        .size:           2
        .value_kind:     hidden_remainder_x
      - .offset:         668
        .size:           2
        .value_kind:     hidden_remainder_y
      - .offset:         670
        .size:           2
        .value_kind:     hidden_remainder_z
      - .offset:         688
        .size:           8
        .value_kind:     hidden_global_offset_x
      - .offset:         696
        .size:           8
        .value_kind:     hidden_global_offset_y
      - .offset:         704
        .size:           8
        .value_kind:     hidden_global_offset_z
      - .offset:         712
        .size:           2
        .value_kind:     hidden_grid_dims
    .group_segment_fixed_size: 32768
    .kernarg_segment_align: 8
    .kernarg_segment_size: 904
    .language:       OpenCL C
    .language_version:
      - 2
      - 0
    .max_flat_workgroup_size: 256
    .name:           _ZN2ck16tensor_operation6device12_GLOBAL__N_137kernel_grouped_conv_fwd_dl_multiple_dINS_32GridwiseGemmDlMultipleD_km_kn_mnILi256EDF16_fNS_5TupleIJDF16_EEEDF16_NS0_12element_wise11PassThroughES8_NS7_7AddReluELNS_25InMemoryDataOperationEnumE0ENS_16TensorDescriptorINS5_IJNS_5EmbedINS5_IJiiiEEESD_Lb0EEENS_11PassThroughIiEENS_3PadIiiiLb0EEESG_SG_NSC_INS5_IJiiEEESJ_Lb0EEESG_NS_23Merge_v2_magic_divisionISJ_EESM_NS_8RightPadIiiLb0EEESO_NS_7UnMergeISJ_Lb0EEESG_EEENS5_IJNS_8SequenceIJLi0EEEENSS_IJLi1EEEENSS_IJLi2EEEENSS_IJLi3EEEENSS_IJLi4EEEENSS_IJLi5EEEENSS_IJLi6EEEENSS_IJLi7ELi9EEEENSS_IJLi8ELi10EEEENSS_IJLi11EEEENSS_IJLi12EEEENSS_IJLi14EEEENSS_IJLi13EEEEEEENS5_IJNSS_IJLi1ELi2ELi3EEEESX_SY_SZ_NSS_IJLi7EEEENSS_IJLi8ELi9EEEENSS_IJLi10EEEES12_S13_S15_S14_NSS_IJLi15ELi16EEEENSS_IJLi17EEEEEEENSS_IJLi15ELi17ELi16EEEElEENSB_INS5_IJSQ_SO_SO_SQ_SG_EEENS5_IJST_SU_SV_SX_SW_EEENS5_IJNSS_IJLi1ELi2EEEESW_SX_NSS_IJLi5ELi6EEEES18_EEENSS_IJLi5ELi7ELi6EEEElEENSB_INS5_IJSK_SO_SO_EEENS5_IJST_SU_SV_EEENS5_IJS1I_SW_SX_EEENSS_IJLi3ELi4EEEElEELi128ELi128ELi16ELi2ELi4ELi4ELi1ENSS_IJLi8ELi2EEEES1S_NSS_IJLi8ELi1ELi1ELi2EEEENSS_IJLi2ELi1ELi128ELi1EEEENSS_IJLi1ELi2ELi0ELi3EEEES1V_NSS_IJLi4ELi1ELi1ELi2EEEES1V_NSS_IJLi1ELi1ELi1ELi2EEEES1T_S1U_S1V_S1V_S1W_S1V_S1X_NSS_IJLi0ELi1ELi2ELi3ELi4ELi5EEEELi5ELi4EEEDF16_NS5_IJPKDF16_EEEDF16_S8_S8_S9_NSB_INS5_IJSE_SG_SI_SG_SG_SK_SG_SM_SM_SO_SO_SQ_SG_SG_NSP_INS5_IJiNS_17integral_constantIiLi128EEEEEELb0EEENSF_INS23_IiLi2EEEEEEEENS5_IJST_SU_SV_SW_SX_SY_SZ_S10_S11_S12_S13_S14_S15_NSS_IJLi15EEEES1C_NSS_IJLi16EEEEEEENS5_IJS17_SX_SY_SZ_S18_S19_S1A_S12_S13_S15_S14_S1B_S1C_NSS_IJLi18EEEENSS_IJLi19ELi20EEEENSS_IJLi21EEEEEEENSS_IJLi18ELi19ELi20ELi21EEEElEENSB_INS5_IJSQ_SO_SO_SQ_SG_SG_S26_S28_EEENS5_IJST_SU_SV_SX_SW_SY_S18_SZ_EEENS5_IJS1I_SW_SX_S1J_S18_NSS_IJLi8EEEENSS_IJLi9ELi10EEEES12_EEENSS_IJLi8ELi9ELi10ELi11EEEElEENS5_IJNSB_INS5_IJSK_SO_SO_NSP_INS5_IJiS27_NS23_IiLi64EEEEEELb0EEES2S_EEENS5_IJST_SU_SV_SW_SX_EEENS5_IJS1I_SW_SX_NSS_IJLi5ELi6ELi7EEEENSS_IJLi8ELi9ELi10EEEEEEENSS_IJLi5ELi6ELi7ELi8ELi9ELi10EEEElEEEEES2Z_NS_31BlockToCTileMap_M00_N00_M01_N01ILi128ELi128ES1R_Lb0EEENS1_30ComputePtrOffsetOfStridedBatchILi1ELi1ELi1EvEELb0ELb0EEEvPKT0_S37_T1_PT2_T3_T4_T5_iT6_T7_T8_T9_T10_T11_
    .private_segment_fixed_size: 0
    .sgpr_count:     71
    .sgpr_spill_count: 0
    .symbol:         _ZN2ck16tensor_operation6device12_GLOBAL__N_137kernel_grouped_conv_fwd_dl_multiple_dINS_32GridwiseGemmDlMultipleD_km_kn_mnILi256EDF16_fNS_5TupleIJDF16_EEEDF16_NS0_12element_wise11PassThroughES8_NS7_7AddReluELNS_25InMemoryDataOperationEnumE0ENS_16TensorDescriptorINS5_IJNS_5EmbedINS5_IJiiiEEESD_Lb0EEENS_11PassThroughIiEENS_3PadIiiiLb0EEESG_SG_NSC_INS5_IJiiEEESJ_Lb0EEESG_NS_23Merge_v2_magic_divisionISJ_EESM_NS_8RightPadIiiLb0EEESO_NS_7UnMergeISJ_Lb0EEESG_EEENS5_IJNS_8SequenceIJLi0EEEENSS_IJLi1EEEENSS_IJLi2EEEENSS_IJLi3EEEENSS_IJLi4EEEENSS_IJLi5EEEENSS_IJLi6EEEENSS_IJLi7ELi9EEEENSS_IJLi8ELi10EEEENSS_IJLi11EEEENSS_IJLi12EEEENSS_IJLi14EEEENSS_IJLi13EEEEEEENS5_IJNSS_IJLi1ELi2ELi3EEEESX_SY_SZ_NSS_IJLi7EEEENSS_IJLi8ELi9EEEENSS_IJLi10EEEES12_S13_S15_S14_NSS_IJLi15ELi16EEEENSS_IJLi17EEEEEEENSS_IJLi15ELi17ELi16EEEElEENSB_INS5_IJSQ_SO_SO_SQ_SG_EEENS5_IJST_SU_SV_SX_SW_EEENS5_IJNSS_IJLi1ELi2EEEESW_SX_NSS_IJLi5ELi6EEEES18_EEENSS_IJLi5ELi7ELi6EEEElEENSB_INS5_IJSK_SO_SO_EEENS5_IJST_SU_SV_EEENS5_IJS1I_SW_SX_EEENSS_IJLi3ELi4EEEElEELi128ELi128ELi16ELi2ELi4ELi4ELi1ENSS_IJLi8ELi2EEEES1S_NSS_IJLi8ELi1ELi1ELi2EEEENSS_IJLi2ELi1ELi128ELi1EEEENSS_IJLi1ELi2ELi0ELi3EEEES1V_NSS_IJLi4ELi1ELi1ELi2EEEES1V_NSS_IJLi1ELi1ELi1ELi2EEEES1T_S1U_S1V_S1V_S1W_S1V_S1X_NSS_IJLi0ELi1ELi2ELi3ELi4ELi5EEEELi5ELi4EEEDF16_NS5_IJPKDF16_EEEDF16_S8_S8_S9_NSB_INS5_IJSE_SG_SI_SG_SG_SK_SG_SM_SM_SO_SO_SQ_SG_SG_NSP_INS5_IJiNS_17integral_constantIiLi128EEEEEELb0EEENSF_INS23_IiLi2EEEEEEEENS5_IJST_SU_SV_SW_SX_SY_SZ_S10_S11_S12_S13_S14_S15_NSS_IJLi15EEEES1C_NSS_IJLi16EEEEEEENS5_IJS17_SX_SY_SZ_S18_S19_S1A_S12_S13_S15_S14_S1B_S1C_NSS_IJLi18EEEENSS_IJLi19ELi20EEEENSS_IJLi21EEEEEEENSS_IJLi18ELi19ELi20ELi21EEEElEENSB_INS5_IJSQ_SO_SO_SQ_SG_SG_S26_S28_EEENS5_IJST_SU_SV_SX_SW_SY_S18_SZ_EEENS5_IJS1I_SW_SX_S1J_S18_NSS_IJLi8EEEENSS_IJLi9ELi10EEEES12_EEENSS_IJLi8ELi9ELi10ELi11EEEElEENS5_IJNSB_INS5_IJSK_SO_SO_NSP_INS5_IJiS27_NS23_IiLi64EEEEEELb0EEES2S_EEENS5_IJST_SU_SV_SW_SX_EEENS5_IJS1I_SW_SX_NSS_IJLi5ELi6ELi7EEEENSS_IJLi8ELi9ELi10EEEEEEENSS_IJLi5ELi6ELi7ELi8ELi9ELi10EEEElEEEEES2Z_NS_31BlockToCTileMap_M00_N00_M01_N01ILi128ELi128ES1R_Lb0EEENS1_30ComputePtrOffsetOfStridedBatchILi1ELi1ELi1EvEELb0ELb0EEEvPKT0_S37_T1_PT2_T3_T4_T5_iT6_T7_T8_T9_T10_T11_.kd
    .uniform_work_group_size: 1
    .uses_dynamic_stack: false
    .vgpr_count:     94
    .vgpr_spill_count: 0
    .wavefront_size: 64
  - .agpr_count:     0
    .args:
      - .actual_access:  read_only
        .address_space:  global
        .offset:         0
        .size:           8
        .value_kind:     global_buffer
      - .actual_access:  read_only
        .address_space:  global
        .offset:         8
        .size:           8
        .value_kind:     global_buffer
      - .address_space:  global
        .offset:         16
        .size:           8
        .value_kind:     global_buffer
      - .actual_access:  write_only
        .address_space:  global
        .offset:         24
        .size:           8
        .value_kind:     global_buffer
      - .offset:         32
        .size:           1
        .value_kind:     by_value
      - .offset:         33
        .size:           1
        .value_kind:     by_value
      - .offset:         34
        .size:           1
        .value_kind:     by_value
      - .offset:         36
        .size:           4
        .value_kind:     by_value
      - .offset:         40
        .size:           264
        .value_kind:     by_value
      - .offset:         304
        .size:           96
        .value_kind:     by_value
      - .offset:         400
        .size:           80
        .value_kind:     by_value
      - .offset:         480
        .size:           80
        .value_kind:     by_value
      - .offset:         560
        .size:           112
        .value_kind:     by_value
      - .offset:         672
        .size:           40
        .value_kind:     by_value
      - .offset:         712
        .size:           4
        .value_kind:     hidden_block_count_x
      - .offset:         716
        .size:           4
        .value_kind:     hidden_block_count_y
      - .offset:         720
        .size:           4
        .value_kind:     hidden_block_count_z
      - .offset:         724
        .size:           2
        .value_kind:     hidden_group_size_x
      - .offset:         726
        .size:           2
        .value_kind:     hidden_group_size_y
      - .offset:         728
        .size:           2
        .value_kind:     hidden_group_size_z
      - .offset:         730
        .size:           2
        .value_kind:     hidden_remainder_x
      - .offset:         732
        .size:           2
        .value_kind:     hidden_remainder_y
      - .offset:         734
        .size:           2
        .value_kind:     hidden_remainder_z
      - .offset:         752
        .size:           8
        .value_kind:     hidden_global_offset_x
      - .offset:         760
        .size:           8
        .value_kind:     hidden_global_offset_y
      - .offset:         768
        .size:           8
        .value_kind:     hidden_global_offset_z
      - .offset:         776
        .size:           2
        .value_kind:     hidden_grid_dims
    .group_segment_fixed_size: 32768
    .kernarg_segment_align: 8
    .kernarg_segment_size: 968
    .language:       OpenCL C
    .language_version:
      - 2
      - 0
    .max_flat_workgroup_size: 256
    .name:           _ZN2ck16tensor_operation6device12_GLOBAL__N_137kernel_grouped_conv_fwd_dl_multiple_dINS_32GridwiseGemmDlMultipleD_km_kn_mnILi256EDF16_fNS_5TupleIJDF16_EEEDF16_NS0_12element_wise11PassThroughES8_NS7_7AddReluELNS_25InMemoryDataOperationEnumE0ENS_16TensorDescriptorINS5_IJNS_5EmbedINS5_IJiiiiEEESD_Lb0EEENS_11PassThroughIiEENS_3PadIiiiLb0EEESI_SG_SG_NSC_INS5_IJiiEEESJ_Lb0EEESK_SG_NS_23Merge_v2_magic_divisionINS5_IJiiiEEEEESN_NS_8RightPadIiiLb0EEESP_NS_7UnMergeISJ_Lb0EEESG_EEENS5_IJNS_8SequenceIJLi0EEEENST_IJLi1EEEENST_IJLi2EEEENST_IJLi3EEEENST_IJLi4EEEENST_IJLi5EEEENST_IJLi6EEEENST_IJLi7EEEENST_IJLi8EEEENST_IJLi9ELi11ELi13EEEENST_IJLi10ELi12ELi14EEEENST_IJLi15EEEENST_IJLi16EEEENST_IJLi18EEEENST_IJLi17EEEEEEENS5_IJNST_IJLi1ELi2ELi3ELi4EEEESZ_S10_S11_S12_NST_IJLi9EEEENST_IJLi10ELi11EEEENST_IJLi12ELi13EEEENST_IJLi14EEEES15_S16_S18_S17_NST_IJLi19ELi20EEEENST_IJLi21EEEEEEENST_IJLi19ELi21ELi20EEEElEENSB_INS5_IJSR_SP_SP_SR_SG_EEENS5_IJSU_SV_SW_SY_SX_EEENS5_IJNST_IJLi1ELi2EEEESX_SY_NST_IJLi5ELi6EEEES11_EEENST_IJLi5ELi7ELi6EEEElEENSB_INS5_IJSK_SP_SP_EEENS5_IJSU_SV_SW_EEENS5_IJS1M_SX_SY_EEENST_IJLi3ELi4EEEElEELi128ELi128ELi16ELi2ELi4ELi4ELi1ENST_IJLi8ELi2EEEES1W_NST_IJLi8ELi1ELi1ELi2EEEENST_IJLi2ELi1ELi128ELi1EEEENST_IJLi1ELi2ELi0ELi3EEEES1Z_NST_IJLi4ELi1ELi1ELi2EEEES1Z_NST_IJLi1ELi1ELi1ELi2EEEES1X_S1Y_S1Z_S1Z_S20_S1Z_S21_NST_IJLi0ELi1ELi2ELi3ELi4ELi5EEEELi5ELi4EEEDF16_NS5_IJPKDF16_EEEDF16_S8_S8_S9_NSB_INS5_IJSE_SG_SI_SI_SG_SG_SK_SK_SG_SN_SN_SP_SP_SR_SG_SG_NSQ_INS5_IJiNS_17integral_constantIiLi128EEEEEELb0EEENSF_INS27_IiLi2EEEEEEEENS5_IJSU_SV_SW_SX_SY_SZ_S10_S11_S12_S13_S14_S15_S16_S17_S18_NST_IJLi19EEEES1G_NST_IJLi20EEEEEEENS5_IJS1A_SZ_S10_S11_S12_S1B_S1C_S1D_S1E_S15_S16_S18_S17_S1F_S1G_NST_IJLi22EEEENST_IJLi23ELi24EEEENST_IJLi25EEEEEEENST_IJLi22ELi23ELi24ELi25EEEElEENSB_INS5_IJSR_SP_SP_SR_SG_SG_S2A_S2C_EEENS5_IJSU_SV_SW_SY_SX_SZ_S11_S10_EEENS5_IJS1M_SX_SY_S1N_S11_S12_NST_IJLi9ELi10EEEENST_IJLi11EEEEEEENST_IJLi8ELi9ELi10ELi11EEEElEENS5_IJNSB_INS5_IJSK_SP_SP_NSQ_INS5_IJiS2B_NS27_IiLi64EEEEEELb0EEES2W_EEENS5_IJSU_SV_SW_SX_SY_EEENS5_IJS1M_SX_SY_NST_IJLi5ELi6ELi7EEEENST_IJLi8ELi9ELi10EEEEEEENST_IJLi5ELi6ELi7ELi8ELi9ELi10EEEElEEEEES33_NS_31BlockToCTileMap_M00_N00_M01_N01ILi128ELi128ES1V_Lb0EEENS1_30ComputePtrOffsetOfStridedBatchILi1ELi1ELi1EvEELb1ELb1EEEvPKT0_S3B_T1_PT2_T3_T4_T5_iT6_T7_T8_T9_T10_T11_
    .private_segment_fixed_size: 0
    .sgpr_count:     80
    .sgpr_spill_count: 0
    .symbol:         _ZN2ck16tensor_operation6device12_GLOBAL__N_137kernel_grouped_conv_fwd_dl_multiple_dINS_32GridwiseGemmDlMultipleD_km_kn_mnILi256EDF16_fNS_5TupleIJDF16_EEEDF16_NS0_12element_wise11PassThroughES8_NS7_7AddReluELNS_25InMemoryDataOperationEnumE0ENS_16TensorDescriptorINS5_IJNS_5EmbedINS5_IJiiiiEEESD_Lb0EEENS_11PassThroughIiEENS_3PadIiiiLb0EEESI_SG_SG_NSC_INS5_IJiiEEESJ_Lb0EEESK_SG_NS_23Merge_v2_magic_divisionINS5_IJiiiEEEEESN_NS_8RightPadIiiLb0EEESP_NS_7UnMergeISJ_Lb0EEESG_EEENS5_IJNS_8SequenceIJLi0EEEENST_IJLi1EEEENST_IJLi2EEEENST_IJLi3EEEENST_IJLi4EEEENST_IJLi5EEEENST_IJLi6EEEENST_IJLi7EEEENST_IJLi8EEEENST_IJLi9ELi11ELi13EEEENST_IJLi10ELi12ELi14EEEENST_IJLi15EEEENST_IJLi16EEEENST_IJLi18EEEENST_IJLi17EEEEEEENS5_IJNST_IJLi1ELi2ELi3ELi4EEEESZ_S10_S11_S12_NST_IJLi9EEEENST_IJLi10ELi11EEEENST_IJLi12ELi13EEEENST_IJLi14EEEES15_S16_S18_S17_NST_IJLi19ELi20EEEENST_IJLi21EEEEEEENST_IJLi19ELi21ELi20EEEElEENSB_INS5_IJSR_SP_SP_SR_SG_EEENS5_IJSU_SV_SW_SY_SX_EEENS5_IJNST_IJLi1ELi2EEEESX_SY_NST_IJLi5ELi6EEEES11_EEENST_IJLi5ELi7ELi6EEEElEENSB_INS5_IJSK_SP_SP_EEENS5_IJSU_SV_SW_EEENS5_IJS1M_SX_SY_EEENST_IJLi3ELi4EEEElEELi128ELi128ELi16ELi2ELi4ELi4ELi1ENST_IJLi8ELi2EEEES1W_NST_IJLi8ELi1ELi1ELi2EEEENST_IJLi2ELi1ELi128ELi1EEEENST_IJLi1ELi2ELi0ELi3EEEES1Z_NST_IJLi4ELi1ELi1ELi2EEEES1Z_NST_IJLi1ELi1ELi1ELi2EEEES1X_S1Y_S1Z_S1Z_S20_S1Z_S21_NST_IJLi0ELi1ELi2ELi3ELi4ELi5EEEELi5ELi4EEEDF16_NS5_IJPKDF16_EEEDF16_S8_S8_S9_NSB_INS5_IJSE_SG_SI_SI_SG_SG_SK_SK_SG_SN_SN_SP_SP_SR_SG_SG_NSQ_INS5_IJiNS_17integral_constantIiLi128EEEEEELb0EEENSF_INS27_IiLi2EEEEEEEENS5_IJSU_SV_SW_SX_SY_SZ_S10_S11_S12_S13_S14_S15_S16_S17_S18_NST_IJLi19EEEES1G_NST_IJLi20EEEEEEENS5_IJS1A_SZ_S10_S11_S12_S1B_S1C_S1D_S1E_S15_S16_S18_S17_S1F_S1G_NST_IJLi22EEEENST_IJLi23ELi24EEEENST_IJLi25EEEEEEENST_IJLi22ELi23ELi24ELi25EEEElEENSB_INS5_IJSR_SP_SP_SR_SG_SG_S2A_S2C_EEENS5_IJSU_SV_SW_SY_SX_SZ_S11_S10_EEENS5_IJS1M_SX_SY_S1N_S11_S12_NST_IJLi9ELi10EEEENST_IJLi11EEEEEEENST_IJLi8ELi9ELi10ELi11EEEElEENS5_IJNSB_INS5_IJSK_SP_SP_NSQ_INS5_IJiS2B_NS27_IiLi64EEEEEELb0EEES2W_EEENS5_IJSU_SV_SW_SX_SY_EEENS5_IJS1M_SX_SY_NST_IJLi5ELi6ELi7EEEENST_IJLi8ELi9ELi10EEEEEEENST_IJLi5ELi6ELi7ELi8ELi9ELi10EEEElEEEEES33_NS_31BlockToCTileMap_M00_N00_M01_N01ILi128ELi128ES1V_Lb0EEENS1_30ComputePtrOffsetOfStridedBatchILi1ELi1ELi1EvEELb1ELb1EEEvPKT0_S3B_T1_PT2_T3_T4_T5_iT6_T7_T8_T9_T10_T11_.kd
    .uniform_work_group_size: 1
    .uses_dynamic_stack: false
    .vgpr_count:     136
    .vgpr_spill_count: 0
    .wavefront_size: 64
  - .agpr_count:     0
    .args:
      - .actual_access:  read_only
        .address_space:  global
        .offset:         0
        .size:           8
        .value_kind:     global_buffer
      - .actual_access:  read_only
        .address_space:  global
        .offset:         8
        .size:           8
        .value_kind:     global_buffer
      - .address_space:  global
        .offset:         16
        .size:           8
        .value_kind:     global_buffer
      - .actual_access:  write_only
        .address_space:  global
        .offset:         24
        .size:           8
        .value_kind:     global_buffer
      - .offset:         32
        .size:           1
        .value_kind:     by_value
      - .offset:         33
        .size:           1
        .value_kind:     by_value
      - .offset:         34
        .size:           1
        .value_kind:     by_value
      - .offset:         36
        .size:           4
        .value_kind:     by_value
      - .offset:         40
        .size:           264
        .value_kind:     by_value
      - .offset:         304
        .size:           96
        .value_kind:     by_value
      - .offset:         400
        .size:           80
        .value_kind:     by_value
      - .offset:         480
        .size:           80
        .value_kind:     by_value
      - .offset:         560
        .size:           112
        .value_kind:     by_value
      - .offset:         672
        .size:           40
        .value_kind:     by_value
      - .offset:         712
        .size:           4
        .value_kind:     hidden_block_count_x
      - .offset:         716
        .size:           4
        .value_kind:     hidden_block_count_y
      - .offset:         720
        .size:           4
        .value_kind:     hidden_block_count_z
      - .offset:         724
        .size:           2
        .value_kind:     hidden_group_size_x
      - .offset:         726
        .size:           2
        .value_kind:     hidden_group_size_y
      - .offset:         728
        .size:           2
        .value_kind:     hidden_group_size_z
      - .offset:         730
        .size:           2
        .value_kind:     hidden_remainder_x
      - .offset:         732
        .size:           2
        .value_kind:     hidden_remainder_y
      - .offset:         734
        .size:           2
        .value_kind:     hidden_remainder_z
      - .offset:         752
        .size:           8
        .value_kind:     hidden_global_offset_x
      - .offset:         760
        .size:           8
        .value_kind:     hidden_global_offset_y
      - .offset:         768
        .size:           8
        .value_kind:     hidden_global_offset_z
      - .offset:         776
        .size:           2
        .value_kind:     hidden_grid_dims
    .group_segment_fixed_size: 32768
    .kernarg_segment_align: 8
    .kernarg_segment_size: 968
    .language:       OpenCL C
    .language_version:
      - 2
      - 0
    .max_flat_workgroup_size: 256
    .name:           _ZN2ck16tensor_operation6device12_GLOBAL__N_137kernel_grouped_conv_fwd_dl_multiple_dINS_32GridwiseGemmDlMultipleD_km_kn_mnILi256EDF16_fNS_5TupleIJDF16_EEEDF16_NS0_12element_wise11PassThroughES8_NS7_7AddReluELNS_25InMemoryDataOperationEnumE0ENS_16TensorDescriptorINS5_IJNS_5EmbedINS5_IJiiiiEEESD_Lb0EEENS_11PassThroughIiEENS_3PadIiiiLb0EEESI_SG_SG_NSC_INS5_IJiiEEESJ_Lb0EEESK_SG_NS_23Merge_v2_magic_divisionINS5_IJiiiEEEEESN_NS_8RightPadIiiLb0EEESP_NS_7UnMergeISJ_Lb0EEESG_EEENS5_IJNS_8SequenceIJLi0EEEENST_IJLi1EEEENST_IJLi2EEEENST_IJLi3EEEENST_IJLi4EEEENST_IJLi5EEEENST_IJLi6EEEENST_IJLi7EEEENST_IJLi8EEEENST_IJLi9ELi11ELi13EEEENST_IJLi10ELi12ELi14EEEENST_IJLi15EEEENST_IJLi16EEEENST_IJLi18EEEENST_IJLi17EEEEEEENS5_IJNST_IJLi1ELi2ELi3ELi4EEEESZ_S10_S11_S12_NST_IJLi9EEEENST_IJLi10ELi11EEEENST_IJLi12ELi13EEEENST_IJLi14EEEES15_S16_S18_S17_NST_IJLi19ELi20EEEENST_IJLi21EEEEEEENST_IJLi19ELi21ELi20EEEElEENSB_INS5_IJSR_SP_SP_SR_SG_EEENS5_IJSU_SV_SW_SY_SX_EEENS5_IJNST_IJLi1ELi2EEEESX_SY_NST_IJLi5ELi6EEEES11_EEENST_IJLi5ELi7ELi6EEEElEENSB_INS5_IJSK_SP_SP_EEENS5_IJSU_SV_SW_EEENS5_IJS1M_SX_SY_EEENST_IJLi3ELi4EEEElEELi128ELi128ELi16ELi2ELi4ELi4ELi1ENST_IJLi8ELi2EEEES1W_NST_IJLi8ELi1ELi1ELi2EEEENST_IJLi2ELi1ELi128ELi1EEEENST_IJLi1ELi2ELi0ELi3EEEES1Z_NST_IJLi4ELi1ELi1ELi2EEEES1Z_NST_IJLi1ELi1ELi1ELi2EEEES1X_S1Y_S1Z_S1Z_S20_S1Z_S21_NST_IJLi0ELi1ELi2ELi3ELi4ELi5EEEELi5ELi4EEEDF16_NS5_IJPKDF16_EEEDF16_S8_S8_S9_NSB_INS5_IJSE_SG_SI_SI_SG_SG_SK_SK_SG_SN_SN_SP_SP_SR_SG_SG_NSQ_INS5_IJiNS_17integral_constantIiLi128EEEEEELb0EEENSF_INS27_IiLi2EEEEEEEENS5_IJSU_SV_SW_SX_SY_SZ_S10_S11_S12_S13_S14_S15_S16_S17_S18_NST_IJLi19EEEES1G_NST_IJLi20EEEEEEENS5_IJS1A_SZ_S10_S11_S12_S1B_S1C_S1D_S1E_S15_S16_S18_S17_S1F_S1G_NST_IJLi22EEEENST_IJLi23ELi24EEEENST_IJLi25EEEEEEENST_IJLi22ELi23ELi24ELi25EEEElEENSB_INS5_IJSR_SP_SP_SR_SG_SG_S2A_S2C_EEENS5_IJSU_SV_SW_SY_SX_SZ_S11_S10_EEENS5_IJS1M_SX_SY_S1N_S11_S12_NST_IJLi9ELi10EEEENST_IJLi11EEEEEEENST_IJLi8ELi9ELi10ELi11EEEElEENS5_IJNSB_INS5_IJSK_SP_SP_NSQ_INS5_IJiS2B_NS27_IiLi64EEEEEELb0EEES2W_EEENS5_IJSU_SV_SW_SX_SY_EEENS5_IJS1M_SX_SY_NST_IJLi5ELi6ELi7EEEENST_IJLi8ELi9ELi10EEEEEEENST_IJLi5ELi6ELi7ELi8ELi9ELi10EEEElEEEEES33_NS_31BlockToCTileMap_M00_N00_M01_N01ILi128ELi128ES1V_Lb0EEENS1_30ComputePtrOffsetOfStridedBatchILi1ELi1ELi1EvEELb1ELb0EEEvPKT0_S3B_T1_PT2_T3_T4_T5_iT6_T7_T8_T9_T10_T11_
    .private_segment_fixed_size: 0
    .sgpr_count:     88
    .sgpr_spill_count: 0
    .symbol:         _ZN2ck16tensor_operation6device12_GLOBAL__N_137kernel_grouped_conv_fwd_dl_multiple_dINS_32GridwiseGemmDlMultipleD_km_kn_mnILi256EDF16_fNS_5TupleIJDF16_EEEDF16_NS0_12element_wise11PassThroughES8_NS7_7AddReluELNS_25InMemoryDataOperationEnumE0ENS_16TensorDescriptorINS5_IJNS_5EmbedINS5_IJiiiiEEESD_Lb0EEENS_11PassThroughIiEENS_3PadIiiiLb0EEESI_SG_SG_NSC_INS5_IJiiEEESJ_Lb0EEESK_SG_NS_23Merge_v2_magic_divisionINS5_IJiiiEEEEESN_NS_8RightPadIiiLb0EEESP_NS_7UnMergeISJ_Lb0EEESG_EEENS5_IJNS_8SequenceIJLi0EEEENST_IJLi1EEEENST_IJLi2EEEENST_IJLi3EEEENST_IJLi4EEEENST_IJLi5EEEENST_IJLi6EEEENST_IJLi7EEEENST_IJLi8EEEENST_IJLi9ELi11ELi13EEEENST_IJLi10ELi12ELi14EEEENST_IJLi15EEEENST_IJLi16EEEENST_IJLi18EEEENST_IJLi17EEEEEEENS5_IJNST_IJLi1ELi2ELi3ELi4EEEESZ_S10_S11_S12_NST_IJLi9EEEENST_IJLi10ELi11EEEENST_IJLi12ELi13EEEENST_IJLi14EEEES15_S16_S18_S17_NST_IJLi19ELi20EEEENST_IJLi21EEEEEEENST_IJLi19ELi21ELi20EEEElEENSB_INS5_IJSR_SP_SP_SR_SG_EEENS5_IJSU_SV_SW_SY_SX_EEENS5_IJNST_IJLi1ELi2EEEESX_SY_NST_IJLi5ELi6EEEES11_EEENST_IJLi5ELi7ELi6EEEElEENSB_INS5_IJSK_SP_SP_EEENS5_IJSU_SV_SW_EEENS5_IJS1M_SX_SY_EEENST_IJLi3ELi4EEEElEELi128ELi128ELi16ELi2ELi4ELi4ELi1ENST_IJLi8ELi2EEEES1W_NST_IJLi8ELi1ELi1ELi2EEEENST_IJLi2ELi1ELi128ELi1EEEENST_IJLi1ELi2ELi0ELi3EEEES1Z_NST_IJLi4ELi1ELi1ELi2EEEES1Z_NST_IJLi1ELi1ELi1ELi2EEEES1X_S1Y_S1Z_S1Z_S20_S1Z_S21_NST_IJLi0ELi1ELi2ELi3ELi4ELi5EEEELi5ELi4EEEDF16_NS5_IJPKDF16_EEEDF16_S8_S8_S9_NSB_INS5_IJSE_SG_SI_SI_SG_SG_SK_SK_SG_SN_SN_SP_SP_SR_SG_SG_NSQ_INS5_IJiNS_17integral_constantIiLi128EEEEEELb0EEENSF_INS27_IiLi2EEEEEEEENS5_IJSU_SV_SW_SX_SY_SZ_S10_S11_S12_S13_S14_S15_S16_S17_S18_NST_IJLi19EEEES1G_NST_IJLi20EEEEEEENS5_IJS1A_SZ_S10_S11_S12_S1B_S1C_S1D_S1E_S15_S16_S18_S17_S1F_S1G_NST_IJLi22EEEENST_IJLi23ELi24EEEENST_IJLi25EEEEEEENST_IJLi22ELi23ELi24ELi25EEEElEENSB_INS5_IJSR_SP_SP_SR_SG_SG_S2A_S2C_EEENS5_IJSU_SV_SW_SY_SX_SZ_S11_S10_EEENS5_IJS1M_SX_SY_S1N_S11_S12_NST_IJLi9ELi10EEEENST_IJLi11EEEEEEENST_IJLi8ELi9ELi10ELi11EEEElEENS5_IJNSB_INS5_IJSK_SP_SP_NSQ_INS5_IJiS2B_NS27_IiLi64EEEEEELb0EEES2W_EEENS5_IJSU_SV_SW_SX_SY_EEENS5_IJS1M_SX_SY_NST_IJLi5ELi6ELi7EEEENST_IJLi8ELi9ELi10EEEEEEENST_IJLi5ELi6ELi7ELi8ELi9ELi10EEEElEEEEES33_NS_31BlockToCTileMap_M00_N00_M01_N01ILi128ELi128ES1V_Lb0EEENS1_30ComputePtrOffsetOfStridedBatchILi1ELi1ELi1EvEELb1ELb0EEEvPKT0_S3B_T1_PT2_T3_T4_T5_iT6_T7_T8_T9_T10_T11_.kd
    .uniform_work_group_size: 1
    .uses_dynamic_stack: false
    .vgpr_count:     130
    .vgpr_spill_count: 0
    .wavefront_size: 64
  - .agpr_count:     0
    .args:
      - .actual_access:  read_only
        .address_space:  global
        .offset:         0
        .size:           8
        .value_kind:     global_buffer
      - .actual_access:  read_only
        .address_space:  global
        .offset:         8
        .size:           8
        .value_kind:     global_buffer
      - .address_space:  global
        .offset:         16
        .size:           8
        .value_kind:     global_buffer
      - .actual_access:  write_only
        .address_space:  global
        .offset:         24
        .size:           8
        .value_kind:     global_buffer
      - .offset:         32
        .size:           1
        .value_kind:     by_value
      - .offset:         33
        .size:           1
        .value_kind:     by_value
      - .offset:         34
        .size:           1
        .value_kind:     by_value
      - .offset:         36
        .size:           4
        .value_kind:     by_value
      - .offset:         40
        .size:           264
        .value_kind:     by_value
      - .offset:         304
        .size:           96
        .value_kind:     by_value
      - .offset:         400
        .size:           80
        .value_kind:     by_value
      - .offset:         480
        .size:           80
        .value_kind:     by_value
      - .offset:         560
        .size:           112
        .value_kind:     by_value
      - .offset:         672
        .size:           40
        .value_kind:     by_value
      - .offset:         712
        .size:           4
        .value_kind:     hidden_block_count_x
      - .offset:         716
        .size:           4
        .value_kind:     hidden_block_count_y
      - .offset:         720
        .size:           4
        .value_kind:     hidden_block_count_z
      - .offset:         724
        .size:           2
        .value_kind:     hidden_group_size_x
      - .offset:         726
        .size:           2
        .value_kind:     hidden_group_size_y
      - .offset:         728
        .size:           2
        .value_kind:     hidden_group_size_z
      - .offset:         730
        .size:           2
        .value_kind:     hidden_remainder_x
      - .offset:         732
        .size:           2
        .value_kind:     hidden_remainder_y
      - .offset:         734
        .size:           2
        .value_kind:     hidden_remainder_z
      - .offset:         752
        .size:           8
        .value_kind:     hidden_global_offset_x
      - .offset:         760
        .size:           8
        .value_kind:     hidden_global_offset_y
      - .offset:         768
        .size:           8
        .value_kind:     hidden_global_offset_z
      - .offset:         776
        .size:           2
        .value_kind:     hidden_grid_dims
    .group_segment_fixed_size: 32768
    .kernarg_segment_align: 8
    .kernarg_segment_size: 968
    .language:       OpenCL C
    .language_version:
      - 2
      - 0
    .max_flat_workgroup_size: 256
    .name:           _ZN2ck16tensor_operation6device12_GLOBAL__N_137kernel_grouped_conv_fwd_dl_multiple_dINS_32GridwiseGemmDlMultipleD_km_kn_mnILi256EDF16_fNS_5TupleIJDF16_EEEDF16_NS0_12element_wise11PassThroughES8_NS7_7AddReluELNS_25InMemoryDataOperationEnumE0ENS_16TensorDescriptorINS5_IJNS_5EmbedINS5_IJiiiiEEESD_Lb0EEENS_11PassThroughIiEENS_3PadIiiiLb0EEESI_SG_SG_NSC_INS5_IJiiEEESJ_Lb0EEESK_SG_NS_23Merge_v2_magic_divisionINS5_IJiiiEEEEESN_NS_8RightPadIiiLb0EEESP_NS_7UnMergeISJ_Lb0EEESG_EEENS5_IJNS_8SequenceIJLi0EEEENST_IJLi1EEEENST_IJLi2EEEENST_IJLi3EEEENST_IJLi4EEEENST_IJLi5EEEENST_IJLi6EEEENST_IJLi7EEEENST_IJLi8EEEENST_IJLi9ELi11ELi13EEEENST_IJLi10ELi12ELi14EEEENST_IJLi15EEEENST_IJLi16EEEENST_IJLi18EEEENST_IJLi17EEEEEEENS5_IJNST_IJLi1ELi2ELi3ELi4EEEESZ_S10_S11_S12_NST_IJLi9EEEENST_IJLi10ELi11EEEENST_IJLi12ELi13EEEENST_IJLi14EEEES15_S16_S18_S17_NST_IJLi19ELi20EEEENST_IJLi21EEEEEEENST_IJLi19ELi21ELi20EEEElEENSB_INS5_IJSR_SP_SP_SR_SG_EEENS5_IJSU_SV_SW_SY_SX_EEENS5_IJNST_IJLi1ELi2EEEESX_SY_NST_IJLi5ELi6EEEES11_EEENST_IJLi5ELi7ELi6EEEElEENSB_INS5_IJSK_SP_SP_EEENS5_IJSU_SV_SW_EEENS5_IJS1M_SX_SY_EEENST_IJLi3ELi4EEEElEELi128ELi128ELi16ELi2ELi4ELi4ELi1ENST_IJLi8ELi2EEEES1W_NST_IJLi8ELi1ELi1ELi2EEEENST_IJLi2ELi1ELi128ELi1EEEENST_IJLi1ELi2ELi0ELi3EEEES1Z_NST_IJLi4ELi1ELi1ELi2EEEES1Z_NST_IJLi1ELi1ELi1ELi2EEEES1X_S1Y_S1Z_S1Z_S20_S1Z_S21_NST_IJLi0ELi1ELi2ELi3ELi4ELi5EEEELi5ELi4EEEDF16_NS5_IJPKDF16_EEEDF16_S8_S8_S9_NSB_INS5_IJSE_SG_SI_SI_SG_SG_SK_SK_SG_SN_SN_SP_SP_SR_SG_SG_NSQ_INS5_IJiNS_17integral_constantIiLi128EEEEEELb0EEENSF_INS27_IiLi2EEEEEEEENS5_IJSU_SV_SW_SX_SY_SZ_S10_S11_S12_S13_S14_S15_S16_S17_S18_NST_IJLi19EEEES1G_NST_IJLi20EEEEEEENS5_IJS1A_SZ_S10_S11_S12_S1B_S1C_S1D_S1E_S15_S16_S18_S17_S1F_S1G_NST_IJLi22EEEENST_IJLi23ELi24EEEENST_IJLi25EEEEEEENST_IJLi22ELi23ELi24ELi25EEEElEENSB_INS5_IJSR_SP_SP_SR_SG_SG_S2A_S2C_EEENS5_IJSU_SV_SW_SY_SX_SZ_S11_S10_EEENS5_IJS1M_SX_SY_S1N_S11_S12_NST_IJLi9ELi10EEEENST_IJLi11EEEEEEENST_IJLi8ELi9ELi10ELi11EEEElEENS5_IJNSB_INS5_IJSK_SP_SP_NSQ_INS5_IJiS2B_NS27_IiLi64EEEEEELb0EEES2W_EEENS5_IJSU_SV_SW_SX_SY_EEENS5_IJS1M_SX_SY_NST_IJLi5ELi6ELi7EEEENST_IJLi8ELi9ELi10EEEEEEENST_IJLi5ELi6ELi7ELi8ELi9ELi10EEEElEEEEES33_NS_31BlockToCTileMap_M00_N00_M01_N01ILi128ELi128ES1V_Lb0EEENS1_30ComputePtrOffsetOfStridedBatchILi1ELi1ELi1EvEELb0ELb1EEEvPKT0_S3B_T1_PT2_T3_T4_T5_iT6_T7_T8_T9_T10_T11_
    .private_segment_fixed_size: 0
    .sgpr_count:     62
    .sgpr_spill_count: 0
    .symbol:         _ZN2ck16tensor_operation6device12_GLOBAL__N_137kernel_grouped_conv_fwd_dl_multiple_dINS_32GridwiseGemmDlMultipleD_km_kn_mnILi256EDF16_fNS_5TupleIJDF16_EEEDF16_NS0_12element_wise11PassThroughES8_NS7_7AddReluELNS_25InMemoryDataOperationEnumE0ENS_16TensorDescriptorINS5_IJNS_5EmbedINS5_IJiiiiEEESD_Lb0EEENS_11PassThroughIiEENS_3PadIiiiLb0EEESI_SG_SG_NSC_INS5_IJiiEEESJ_Lb0EEESK_SG_NS_23Merge_v2_magic_divisionINS5_IJiiiEEEEESN_NS_8RightPadIiiLb0EEESP_NS_7UnMergeISJ_Lb0EEESG_EEENS5_IJNS_8SequenceIJLi0EEEENST_IJLi1EEEENST_IJLi2EEEENST_IJLi3EEEENST_IJLi4EEEENST_IJLi5EEEENST_IJLi6EEEENST_IJLi7EEEENST_IJLi8EEEENST_IJLi9ELi11ELi13EEEENST_IJLi10ELi12ELi14EEEENST_IJLi15EEEENST_IJLi16EEEENST_IJLi18EEEENST_IJLi17EEEEEEENS5_IJNST_IJLi1ELi2ELi3ELi4EEEESZ_S10_S11_S12_NST_IJLi9EEEENST_IJLi10ELi11EEEENST_IJLi12ELi13EEEENST_IJLi14EEEES15_S16_S18_S17_NST_IJLi19ELi20EEEENST_IJLi21EEEEEEENST_IJLi19ELi21ELi20EEEElEENSB_INS5_IJSR_SP_SP_SR_SG_EEENS5_IJSU_SV_SW_SY_SX_EEENS5_IJNST_IJLi1ELi2EEEESX_SY_NST_IJLi5ELi6EEEES11_EEENST_IJLi5ELi7ELi6EEEElEENSB_INS5_IJSK_SP_SP_EEENS5_IJSU_SV_SW_EEENS5_IJS1M_SX_SY_EEENST_IJLi3ELi4EEEElEELi128ELi128ELi16ELi2ELi4ELi4ELi1ENST_IJLi8ELi2EEEES1W_NST_IJLi8ELi1ELi1ELi2EEEENST_IJLi2ELi1ELi128ELi1EEEENST_IJLi1ELi2ELi0ELi3EEEES1Z_NST_IJLi4ELi1ELi1ELi2EEEES1Z_NST_IJLi1ELi1ELi1ELi2EEEES1X_S1Y_S1Z_S1Z_S20_S1Z_S21_NST_IJLi0ELi1ELi2ELi3ELi4ELi5EEEELi5ELi4EEEDF16_NS5_IJPKDF16_EEEDF16_S8_S8_S9_NSB_INS5_IJSE_SG_SI_SI_SG_SG_SK_SK_SG_SN_SN_SP_SP_SR_SG_SG_NSQ_INS5_IJiNS_17integral_constantIiLi128EEEEEELb0EEENSF_INS27_IiLi2EEEEEEEENS5_IJSU_SV_SW_SX_SY_SZ_S10_S11_S12_S13_S14_S15_S16_S17_S18_NST_IJLi19EEEES1G_NST_IJLi20EEEEEEENS5_IJS1A_SZ_S10_S11_S12_S1B_S1C_S1D_S1E_S15_S16_S18_S17_S1F_S1G_NST_IJLi22EEEENST_IJLi23ELi24EEEENST_IJLi25EEEEEEENST_IJLi22ELi23ELi24ELi25EEEElEENSB_INS5_IJSR_SP_SP_SR_SG_SG_S2A_S2C_EEENS5_IJSU_SV_SW_SY_SX_SZ_S11_S10_EEENS5_IJS1M_SX_SY_S1N_S11_S12_NST_IJLi9ELi10EEEENST_IJLi11EEEEEEENST_IJLi8ELi9ELi10ELi11EEEElEENS5_IJNSB_INS5_IJSK_SP_SP_NSQ_INS5_IJiS2B_NS27_IiLi64EEEEEELb0EEES2W_EEENS5_IJSU_SV_SW_SX_SY_EEENS5_IJS1M_SX_SY_NST_IJLi5ELi6ELi7EEEENST_IJLi8ELi9ELi10EEEEEEENST_IJLi5ELi6ELi7ELi8ELi9ELi10EEEElEEEEES33_NS_31BlockToCTileMap_M00_N00_M01_N01ILi128ELi128ES1V_Lb0EEENS1_30ComputePtrOffsetOfStridedBatchILi1ELi1ELi1EvEELb0ELb1EEEvPKT0_S3B_T1_PT2_T3_T4_T5_iT6_T7_T8_T9_T10_T11_.kd
    .uniform_work_group_size: 1
    .uses_dynamic_stack: false
    .vgpr_count:     95
    .vgpr_spill_count: 0
    .wavefront_size: 64
  - .agpr_count:     0
    .args:
      - .actual_access:  read_only
        .address_space:  global
        .offset:         0
        .size:           8
        .value_kind:     global_buffer
      - .actual_access:  read_only
        .address_space:  global
        .offset:         8
        .size:           8
        .value_kind:     global_buffer
      - .address_space:  global
        .offset:         16
        .size:           8
        .value_kind:     global_buffer
      - .actual_access:  write_only
        .address_space:  global
        .offset:         24
        .size:           8
        .value_kind:     global_buffer
      - .offset:         32
        .size:           1
        .value_kind:     by_value
      - .offset:         33
        .size:           1
        .value_kind:     by_value
      - .offset:         34
        .size:           1
        .value_kind:     by_value
      - .offset:         36
        .size:           4
        .value_kind:     by_value
      - .offset:         40
        .size:           264
        .value_kind:     by_value
      - .offset:         304
        .size:           96
        .value_kind:     by_value
      - .offset:         400
        .size:           80
        .value_kind:     by_value
      - .offset:         480
        .size:           80
        .value_kind:     by_value
      - .offset:         560
        .size:           112
        .value_kind:     by_value
      - .offset:         672
        .size:           40
        .value_kind:     by_value
      - .offset:         712
        .size:           4
        .value_kind:     hidden_block_count_x
      - .offset:         716
        .size:           4
        .value_kind:     hidden_block_count_y
      - .offset:         720
        .size:           4
        .value_kind:     hidden_block_count_z
      - .offset:         724
        .size:           2
        .value_kind:     hidden_group_size_x
      - .offset:         726
        .size:           2
        .value_kind:     hidden_group_size_y
      - .offset:         728
        .size:           2
        .value_kind:     hidden_group_size_z
      - .offset:         730
        .size:           2
        .value_kind:     hidden_remainder_x
      - .offset:         732
        .size:           2
        .value_kind:     hidden_remainder_y
      - .offset:         734
        .size:           2
        .value_kind:     hidden_remainder_z
      - .offset:         752
        .size:           8
        .value_kind:     hidden_global_offset_x
      - .offset:         760
        .size:           8
        .value_kind:     hidden_global_offset_y
      - .offset:         768
        .size:           8
        .value_kind:     hidden_global_offset_z
      - .offset:         776
        .size:           2
        .value_kind:     hidden_grid_dims
    .group_segment_fixed_size: 32768
    .kernarg_segment_align: 8
    .kernarg_segment_size: 968
    .language:       OpenCL C
    .language_version:
      - 2
      - 0
    .max_flat_workgroup_size: 256
    .name:           _ZN2ck16tensor_operation6device12_GLOBAL__N_137kernel_grouped_conv_fwd_dl_multiple_dINS_32GridwiseGemmDlMultipleD_km_kn_mnILi256EDF16_fNS_5TupleIJDF16_EEEDF16_NS0_12element_wise11PassThroughES8_NS7_7AddReluELNS_25InMemoryDataOperationEnumE0ENS_16TensorDescriptorINS5_IJNS_5EmbedINS5_IJiiiiEEESD_Lb0EEENS_11PassThroughIiEENS_3PadIiiiLb0EEESI_SG_SG_NSC_INS5_IJiiEEESJ_Lb0EEESK_SG_NS_23Merge_v2_magic_divisionINS5_IJiiiEEEEESN_NS_8RightPadIiiLb0EEESP_NS_7UnMergeISJ_Lb0EEESG_EEENS5_IJNS_8SequenceIJLi0EEEENST_IJLi1EEEENST_IJLi2EEEENST_IJLi3EEEENST_IJLi4EEEENST_IJLi5EEEENST_IJLi6EEEENST_IJLi7EEEENST_IJLi8EEEENST_IJLi9ELi11ELi13EEEENST_IJLi10ELi12ELi14EEEENST_IJLi15EEEENST_IJLi16EEEENST_IJLi18EEEENST_IJLi17EEEEEEENS5_IJNST_IJLi1ELi2ELi3ELi4EEEESZ_S10_S11_S12_NST_IJLi9EEEENST_IJLi10ELi11EEEENST_IJLi12ELi13EEEENST_IJLi14EEEES15_S16_S18_S17_NST_IJLi19ELi20EEEENST_IJLi21EEEEEEENST_IJLi19ELi21ELi20EEEElEENSB_INS5_IJSR_SP_SP_SR_SG_EEENS5_IJSU_SV_SW_SY_SX_EEENS5_IJNST_IJLi1ELi2EEEESX_SY_NST_IJLi5ELi6EEEES11_EEENST_IJLi5ELi7ELi6EEEElEENSB_INS5_IJSK_SP_SP_EEENS5_IJSU_SV_SW_EEENS5_IJS1M_SX_SY_EEENST_IJLi3ELi4EEEElEELi128ELi128ELi16ELi2ELi4ELi4ELi1ENST_IJLi8ELi2EEEES1W_NST_IJLi8ELi1ELi1ELi2EEEENST_IJLi2ELi1ELi128ELi1EEEENST_IJLi1ELi2ELi0ELi3EEEES1Z_NST_IJLi4ELi1ELi1ELi2EEEES1Z_NST_IJLi1ELi1ELi1ELi2EEEES1X_S1Y_S1Z_S1Z_S20_S1Z_S21_NST_IJLi0ELi1ELi2ELi3ELi4ELi5EEEELi5ELi4EEEDF16_NS5_IJPKDF16_EEEDF16_S8_S8_S9_NSB_INS5_IJSE_SG_SI_SI_SG_SG_SK_SK_SG_SN_SN_SP_SP_SR_SG_SG_NSQ_INS5_IJiNS_17integral_constantIiLi128EEEEEELb0EEENSF_INS27_IiLi2EEEEEEEENS5_IJSU_SV_SW_SX_SY_SZ_S10_S11_S12_S13_S14_S15_S16_S17_S18_NST_IJLi19EEEES1G_NST_IJLi20EEEEEEENS5_IJS1A_SZ_S10_S11_S12_S1B_S1C_S1D_S1E_S15_S16_S18_S17_S1F_S1G_NST_IJLi22EEEENST_IJLi23ELi24EEEENST_IJLi25EEEEEEENST_IJLi22ELi23ELi24ELi25EEEElEENSB_INS5_IJSR_SP_SP_SR_SG_SG_S2A_S2C_EEENS5_IJSU_SV_SW_SY_SX_SZ_S11_S10_EEENS5_IJS1M_SX_SY_S1N_S11_S12_NST_IJLi9ELi10EEEENST_IJLi11EEEEEEENST_IJLi8ELi9ELi10ELi11EEEElEENS5_IJNSB_INS5_IJSK_SP_SP_NSQ_INS5_IJiS2B_NS27_IiLi64EEEEEELb0EEES2W_EEENS5_IJSU_SV_SW_SX_SY_EEENS5_IJS1M_SX_SY_NST_IJLi5ELi6ELi7EEEENST_IJLi8ELi9ELi10EEEEEEENST_IJLi5ELi6ELi7ELi8ELi9ELi10EEEElEEEEES33_NS_31BlockToCTileMap_M00_N00_M01_N01ILi128ELi128ES1V_Lb0EEENS1_30ComputePtrOffsetOfStridedBatchILi1ELi1ELi1EvEELb0ELb0EEEvPKT0_S3B_T1_PT2_T3_T4_T5_iT6_T7_T8_T9_T10_T11_
    .private_segment_fixed_size: 0
    .sgpr_count:     68
    .sgpr_spill_count: 0
    .symbol:         _ZN2ck16tensor_operation6device12_GLOBAL__N_137kernel_grouped_conv_fwd_dl_multiple_dINS_32GridwiseGemmDlMultipleD_km_kn_mnILi256EDF16_fNS_5TupleIJDF16_EEEDF16_NS0_12element_wise11PassThroughES8_NS7_7AddReluELNS_25InMemoryDataOperationEnumE0ENS_16TensorDescriptorINS5_IJNS_5EmbedINS5_IJiiiiEEESD_Lb0EEENS_11PassThroughIiEENS_3PadIiiiLb0EEESI_SG_SG_NSC_INS5_IJiiEEESJ_Lb0EEESK_SG_NS_23Merge_v2_magic_divisionINS5_IJiiiEEEEESN_NS_8RightPadIiiLb0EEESP_NS_7UnMergeISJ_Lb0EEESG_EEENS5_IJNS_8SequenceIJLi0EEEENST_IJLi1EEEENST_IJLi2EEEENST_IJLi3EEEENST_IJLi4EEEENST_IJLi5EEEENST_IJLi6EEEENST_IJLi7EEEENST_IJLi8EEEENST_IJLi9ELi11ELi13EEEENST_IJLi10ELi12ELi14EEEENST_IJLi15EEEENST_IJLi16EEEENST_IJLi18EEEENST_IJLi17EEEEEEENS5_IJNST_IJLi1ELi2ELi3ELi4EEEESZ_S10_S11_S12_NST_IJLi9EEEENST_IJLi10ELi11EEEENST_IJLi12ELi13EEEENST_IJLi14EEEES15_S16_S18_S17_NST_IJLi19ELi20EEEENST_IJLi21EEEEEEENST_IJLi19ELi21ELi20EEEElEENSB_INS5_IJSR_SP_SP_SR_SG_EEENS5_IJSU_SV_SW_SY_SX_EEENS5_IJNST_IJLi1ELi2EEEESX_SY_NST_IJLi5ELi6EEEES11_EEENST_IJLi5ELi7ELi6EEEElEENSB_INS5_IJSK_SP_SP_EEENS5_IJSU_SV_SW_EEENS5_IJS1M_SX_SY_EEENST_IJLi3ELi4EEEElEELi128ELi128ELi16ELi2ELi4ELi4ELi1ENST_IJLi8ELi2EEEES1W_NST_IJLi8ELi1ELi1ELi2EEEENST_IJLi2ELi1ELi128ELi1EEEENST_IJLi1ELi2ELi0ELi3EEEES1Z_NST_IJLi4ELi1ELi1ELi2EEEES1Z_NST_IJLi1ELi1ELi1ELi2EEEES1X_S1Y_S1Z_S1Z_S20_S1Z_S21_NST_IJLi0ELi1ELi2ELi3ELi4ELi5EEEELi5ELi4EEEDF16_NS5_IJPKDF16_EEEDF16_S8_S8_S9_NSB_INS5_IJSE_SG_SI_SI_SG_SG_SK_SK_SG_SN_SN_SP_SP_SR_SG_SG_NSQ_INS5_IJiNS_17integral_constantIiLi128EEEEEELb0EEENSF_INS27_IiLi2EEEEEEEENS5_IJSU_SV_SW_SX_SY_SZ_S10_S11_S12_S13_S14_S15_S16_S17_S18_NST_IJLi19EEEES1G_NST_IJLi20EEEEEEENS5_IJS1A_SZ_S10_S11_S12_S1B_S1C_S1D_S1E_S15_S16_S18_S17_S1F_S1G_NST_IJLi22EEEENST_IJLi23ELi24EEEENST_IJLi25EEEEEEENST_IJLi22ELi23ELi24ELi25EEEElEENSB_INS5_IJSR_SP_SP_SR_SG_SG_S2A_S2C_EEENS5_IJSU_SV_SW_SY_SX_SZ_S11_S10_EEENS5_IJS1M_SX_SY_S1N_S11_S12_NST_IJLi9ELi10EEEENST_IJLi11EEEEEEENST_IJLi8ELi9ELi10ELi11EEEElEENS5_IJNSB_INS5_IJSK_SP_SP_NSQ_INS5_IJiS2B_NS27_IiLi64EEEEEELb0EEES2W_EEENS5_IJSU_SV_SW_SX_SY_EEENS5_IJS1M_SX_SY_NST_IJLi5ELi6ELi7EEEENST_IJLi8ELi9ELi10EEEEEEENST_IJLi5ELi6ELi7ELi8ELi9ELi10EEEElEEEEES33_NS_31BlockToCTileMap_M00_N00_M01_N01ILi128ELi128ES1V_Lb0EEENS1_30ComputePtrOffsetOfStridedBatchILi1ELi1ELi1EvEELb0ELb0EEEvPKT0_S3B_T1_PT2_T3_T4_T5_iT6_T7_T8_T9_T10_T11_.kd
    .uniform_work_group_size: 1
    .uses_dynamic_stack: false
    .vgpr_count:     94
    .vgpr_spill_count: 0
    .wavefront_size: 64
  - .agpr_count:     0
    .args:
      - .actual_access:  read_only
        .address_space:  global
        .offset:         0
        .size:           8
        .value_kind:     global_buffer
      - .actual_access:  read_only
        .address_space:  global
        .offset:         8
        .size:           8
        .value_kind:     global_buffer
      - .address_space:  global
        .offset:         16
        .size:           8
        .value_kind:     global_buffer
      - .actual_access:  write_only
        .address_space:  global
        .offset:         24
        .size:           8
        .value_kind:     global_buffer
      - .offset:         32
        .size:           1
        .value_kind:     by_value
      - .offset:         33
        .size:           1
        .value_kind:     by_value
      - .offset:         34
        .size:           1
        .value_kind:     by_value
      - .offset:         36
        .size:           4
        .value_kind:     by_value
      - .offset:         40
        .size:           320
        .value_kind:     by_value
      - .offset:         360
        .size:           96
        .value_kind:     by_value
      - .offset:         456
        .size:           80
        .value_kind:     by_value
      - .offset:         536
        .size:           80
        .value_kind:     by_value
      - .offset:         616
        .size:           112
        .value_kind:     by_value
      - .offset:         728
        .size:           40
        .value_kind:     by_value
      - .offset:         768
        .size:           4
        .value_kind:     hidden_block_count_x
      - .offset:         772
        .size:           4
        .value_kind:     hidden_block_count_y
      - .offset:         776
        .size:           4
        .value_kind:     hidden_block_count_z
      - .offset:         780
        .size:           2
        .value_kind:     hidden_group_size_x
      - .offset:         782
        .size:           2
        .value_kind:     hidden_group_size_y
      - .offset:         784
        .size:           2
        .value_kind:     hidden_group_size_z
      - .offset:         786
        .size:           2
        .value_kind:     hidden_remainder_x
      - .offset:         788
        .size:           2
        .value_kind:     hidden_remainder_y
      - .offset:         790
        .size:           2
        .value_kind:     hidden_remainder_z
      - .offset:         808
        .size:           8
        .value_kind:     hidden_global_offset_x
      - .offset:         816
        .size:           8
        .value_kind:     hidden_global_offset_y
      - .offset:         824
        .size:           8
        .value_kind:     hidden_global_offset_z
      - .offset:         832
        .size:           2
        .value_kind:     hidden_grid_dims
    .group_segment_fixed_size: 32768
    .kernarg_segment_align: 8
    .kernarg_segment_size: 1024
    .language:       OpenCL C
    .language_version:
      - 2
      - 0
    .max_flat_workgroup_size: 256
    .name:           _ZN2ck16tensor_operation6device12_GLOBAL__N_137kernel_grouped_conv_fwd_dl_multiple_dINS_32GridwiseGemmDlMultipleD_km_kn_mnILi256EDF16_fNS_5TupleIJDF16_EEEDF16_NS0_12element_wise11PassThroughES8_NS7_7AddReluELNS_25InMemoryDataOperationEnumE0ENS_16TensorDescriptorINS5_IJNS_5EmbedINS5_IJiiiiiEEESD_Lb0EEENS_11PassThroughIiEENS_3PadIiiiLb0EEESI_SI_SG_SG_NSC_INS5_IJiiEEESJ_Lb0EEESK_SK_SG_NS_23Merge_v2_magic_divisionINS5_IJiiiiEEEEESN_NS_8RightPadIiiLb0EEESP_NS_7UnMergeISJ_Lb0EEESG_EEENS5_IJNS_8SequenceIJLi0EEEENST_IJLi1EEEENST_IJLi2EEEENST_IJLi3EEEENST_IJLi4EEEENST_IJLi5EEEENST_IJLi6EEEENST_IJLi7EEEENST_IJLi8EEEENST_IJLi9EEEENST_IJLi10EEEENST_IJLi11ELi13ELi15ELi17EEEENST_IJLi12ELi14ELi16ELi18EEEENST_IJLi19EEEENST_IJLi20EEEENST_IJLi22EEEENST_IJLi21EEEEEEENS5_IJNST_IJLi1ELi2ELi3ELi4ELi5EEEES10_S11_S12_S13_S14_NST_IJLi11EEEENST_IJLi12ELi13EEEENST_IJLi14ELi15EEEENST_IJLi16ELi17EEEENST_IJLi18EEEES17_S18_S1A_S19_NST_IJLi23ELi24EEEENST_IJLi25EEEEEEENST_IJLi23ELi25ELi24EEEElEENSB_INS5_IJSR_SP_SP_SR_SG_EEENS5_IJSU_SV_SW_SY_SX_EEENS5_IJNST_IJLi1ELi2EEEESX_SY_NST_IJLi5ELi6EEEES11_EEENST_IJLi5ELi7ELi6EEEElEENSB_INS5_IJSK_SP_SP_EEENS5_IJSU_SV_SW_EEENS5_IJS1P_SX_SY_EEENST_IJLi3ELi4EEEElEELi128ELi128ELi16ELi2ELi4ELi4ELi1ENST_IJLi8ELi2EEEES1Z_NST_IJLi8ELi1ELi1ELi2EEEENST_IJLi2ELi1ELi128ELi1EEEENST_IJLi1ELi2ELi0ELi3EEEES22_NST_IJLi4ELi1ELi1ELi2EEEES22_NST_IJLi1ELi1ELi1ELi2EEEES20_S21_S22_S22_S23_S22_S24_NST_IJLi0ELi1ELi2ELi3ELi4ELi5EEEELi5ELi4EEEDF16_NS5_IJPKDF16_EEEDF16_S8_S8_S9_NSB_INS5_IJSE_SG_SI_SI_SI_SG_SG_SK_SK_SK_SG_SN_SN_SP_SP_SR_SG_SG_NSQ_INS5_IJiNS_17integral_constantIiLi128EEEEEELb0EEENSF_INS2A_IiLi2EEEEEEEENS5_IJSU_SV_SW_SX_SY_SZ_S10_S11_S12_S13_S14_S15_S16_S17_S18_S19_S1A_NST_IJLi23EEEES1J_NST_IJLi24EEEEEEENS5_IJS1C_S10_S11_S12_S13_S14_S1D_S1E_S1F_S1G_S1H_S17_S18_S1A_S19_S1I_S1J_NST_IJLi26EEEENST_IJLi27ELi28EEEENST_IJLi29EEEEEEENST_IJLi26ELi27ELi28ELi29EEEElEENSB_INS5_IJSR_SP_SP_SR_SG_SG_S2D_S2F_EEENS5_IJSU_SV_SW_SY_SX_SZ_S11_S10_EEENS5_IJS1P_SX_SY_S1Q_S11_S12_NST_IJLi9ELi10EEEES1D_EEENST_IJLi8ELi9ELi10ELi11EEEElEENS5_IJNSB_INS5_IJSK_SP_SP_NSQ_INS5_IJiS2E_NS2A_IiLi64EEEEEELb0EEES2Y_EEENS5_IJSU_SV_SW_SX_SY_EEENS5_IJS1P_SX_SY_NST_IJLi5ELi6ELi7EEEENST_IJLi8ELi9ELi10EEEEEEENST_IJLi5ELi6ELi7ELi8ELi9ELi10EEEElEEEEES35_NS_31BlockToCTileMap_M00_N00_M01_N01ILi128ELi128ES1Y_Lb0EEENS1_30ComputePtrOffsetOfStridedBatchILi1ELi1ELi1EvEELb1ELb1EEEvPKT0_S3D_T1_PT2_T3_T4_T5_iT6_T7_T8_T9_T10_T11_
    .private_segment_fixed_size: 0
    .sgpr_count:     106
    .sgpr_spill_count: 12
    .symbol:         _ZN2ck16tensor_operation6device12_GLOBAL__N_137kernel_grouped_conv_fwd_dl_multiple_dINS_32GridwiseGemmDlMultipleD_km_kn_mnILi256EDF16_fNS_5TupleIJDF16_EEEDF16_NS0_12element_wise11PassThroughES8_NS7_7AddReluELNS_25InMemoryDataOperationEnumE0ENS_16TensorDescriptorINS5_IJNS_5EmbedINS5_IJiiiiiEEESD_Lb0EEENS_11PassThroughIiEENS_3PadIiiiLb0EEESI_SI_SG_SG_NSC_INS5_IJiiEEESJ_Lb0EEESK_SK_SG_NS_23Merge_v2_magic_divisionINS5_IJiiiiEEEEESN_NS_8RightPadIiiLb0EEESP_NS_7UnMergeISJ_Lb0EEESG_EEENS5_IJNS_8SequenceIJLi0EEEENST_IJLi1EEEENST_IJLi2EEEENST_IJLi3EEEENST_IJLi4EEEENST_IJLi5EEEENST_IJLi6EEEENST_IJLi7EEEENST_IJLi8EEEENST_IJLi9EEEENST_IJLi10EEEENST_IJLi11ELi13ELi15ELi17EEEENST_IJLi12ELi14ELi16ELi18EEEENST_IJLi19EEEENST_IJLi20EEEENST_IJLi22EEEENST_IJLi21EEEEEEENS5_IJNST_IJLi1ELi2ELi3ELi4ELi5EEEES10_S11_S12_S13_S14_NST_IJLi11EEEENST_IJLi12ELi13EEEENST_IJLi14ELi15EEEENST_IJLi16ELi17EEEENST_IJLi18EEEES17_S18_S1A_S19_NST_IJLi23ELi24EEEENST_IJLi25EEEEEEENST_IJLi23ELi25ELi24EEEElEENSB_INS5_IJSR_SP_SP_SR_SG_EEENS5_IJSU_SV_SW_SY_SX_EEENS5_IJNST_IJLi1ELi2EEEESX_SY_NST_IJLi5ELi6EEEES11_EEENST_IJLi5ELi7ELi6EEEElEENSB_INS5_IJSK_SP_SP_EEENS5_IJSU_SV_SW_EEENS5_IJS1P_SX_SY_EEENST_IJLi3ELi4EEEElEELi128ELi128ELi16ELi2ELi4ELi4ELi1ENST_IJLi8ELi2EEEES1Z_NST_IJLi8ELi1ELi1ELi2EEEENST_IJLi2ELi1ELi128ELi1EEEENST_IJLi1ELi2ELi0ELi3EEEES22_NST_IJLi4ELi1ELi1ELi2EEEES22_NST_IJLi1ELi1ELi1ELi2EEEES20_S21_S22_S22_S23_S22_S24_NST_IJLi0ELi1ELi2ELi3ELi4ELi5EEEELi5ELi4EEEDF16_NS5_IJPKDF16_EEEDF16_S8_S8_S9_NSB_INS5_IJSE_SG_SI_SI_SI_SG_SG_SK_SK_SK_SG_SN_SN_SP_SP_SR_SG_SG_NSQ_INS5_IJiNS_17integral_constantIiLi128EEEEEELb0EEENSF_INS2A_IiLi2EEEEEEEENS5_IJSU_SV_SW_SX_SY_SZ_S10_S11_S12_S13_S14_S15_S16_S17_S18_S19_S1A_NST_IJLi23EEEES1J_NST_IJLi24EEEEEEENS5_IJS1C_S10_S11_S12_S13_S14_S1D_S1E_S1F_S1G_S1H_S17_S18_S1A_S19_S1I_S1J_NST_IJLi26EEEENST_IJLi27ELi28EEEENST_IJLi29EEEEEEENST_IJLi26ELi27ELi28ELi29EEEElEENSB_INS5_IJSR_SP_SP_SR_SG_SG_S2D_S2F_EEENS5_IJSU_SV_SW_SY_SX_SZ_S11_S10_EEENS5_IJS1P_SX_SY_S1Q_S11_S12_NST_IJLi9ELi10EEEES1D_EEENST_IJLi8ELi9ELi10ELi11EEEElEENS5_IJNSB_INS5_IJSK_SP_SP_NSQ_INS5_IJiS2E_NS2A_IiLi64EEEEEELb0EEES2Y_EEENS5_IJSU_SV_SW_SX_SY_EEENS5_IJS1P_SX_SY_NST_IJLi5ELi6ELi7EEEENST_IJLi8ELi9ELi10EEEEEEENST_IJLi5ELi6ELi7ELi8ELi9ELi10EEEElEEEEES35_NS_31BlockToCTileMap_M00_N00_M01_N01ILi128ELi128ES1Y_Lb0EEENS1_30ComputePtrOffsetOfStridedBatchILi1ELi1ELi1EvEELb1ELb1EEEvPKT0_S3D_T1_PT2_T3_T4_T5_iT6_T7_T8_T9_T10_T11_.kd
    .uniform_work_group_size: 1
    .uses_dynamic_stack: false
    .vgpr_count:     183
    .vgpr_spill_count: 0
    .wavefront_size: 64
  - .agpr_count:     0
    .args:
      - .actual_access:  read_only
        .address_space:  global
        .offset:         0
        .size:           8
        .value_kind:     global_buffer
      - .actual_access:  read_only
        .address_space:  global
        .offset:         8
        .size:           8
        .value_kind:     global_buffer
      - .address_space:  global
        .offset:         16
        .size:           8
        .value_kind:     global_buffer
      - .actual_access:  write_only
        .address_space:  global
        .offset:         24
        .size:           8
        .value_kind:     global_buffer
      - .offset:         32
        .size:           1
        .value_kind:     by_value
      - .offset:         33
        .size:           1
        .value_kind:     by_value
      - .offset:         34
        .size:           1
        .value_kind:     by_value
      - .offset:         36
        .size:           4
        .value_kind:     by_value
      - .offset:         40
        .size:           320
        .value_kind:     by_value
      - .offset:         360
        .size:           96
        .value_kind:     by_value
      - .offset:         456
        .size:           80
        .value_kind:     by_value
      - .offset:         536
        .size:           80
        .value_kind:     by_value
      - .offset:         616
        .size:           112
        .value_kind:     by_value
      - .offset:         728
        .size:           40
        .value_kind:     by_value
      - .offset:         768
        .size:           4
        .value_kind:     hidden_block_count_x
      - .offset:         772
        .size:           4
        .value_kind:     hidden_block_count_y
      - .offset:         776
        .size:           4
        .value_kind:     hidden_block_count_z
      - .offset:         780
        .size:           2
        .value_kind:     hidden_group_size_x
      - .offset:         782
        .size:           2
        .value_kind:     hidden_group_size_y
      - .offset:         784
        .size:           2
        .value_kind:     hidden_group_size_z
      - .offset:         786
        .size:           2
        .value_kind:     hidden_remainder_x
      - .offset:         788
        .size:           2
        .value_kind:     hidden_remainder_y
      - .offset:         790
        .size:           2
        .value_kind:     hidden_remainder_z
      - .offset:         808
        .size:           8
        .value_kind:     hidden_global_offset_x
      - .offset:         816
        .size:           8
        .value_kind:     hidden_global_offset_y
      - .offset:         824
        .size:           8
        .value_kind:     hidden_global_offset_z
      - .offset:         832
        .size:           2
        .value_kind:     hidden_grid_dims
    .group_segment_fixed_size: 32768
    .kernarg_segment_align: 8
    .kernarg_segment_size: 1024
    .language:       OpenCL C
    .language_version:
      - 2
      - 0
    .max_flat_workgroup_size: 256
    .name:           _ZN2ck16tensor_operation6device12_GLOBAL__N_137kernel_grouped_conv_fwd_dl_multiple_dINS_32GridwiseGemmDlMultipleD_km_kn_mnILi256EDF16_fNS_5TupleIJDF16_EEEDF16_NS0_12element_wise11PassThroughES8_NS7_7AddReluELNS_25InMemoryDataOperationEnumE0ENS_16TensorDescriptorINS5_IJNS_5EmbedINS5_IJiiiiiEEESD_Lb0EEENS_11PassThroughIiEENS_3PadIiiiLb0EEESI_SI_SG_SG_NSC_INS5_IJiiEEESJ_Lb0EEESK_SK_SG_NS_23Merge_v2_magic_divisionINS5_IJiiiiEEEEESN_NS_8RightPadIiiLb0EEESP_NS_7UnMergeISJ_Lb0EEESG_EEENS5_IJNS_8SequenceIJLi0EEEENST_IJLi1EEEENST_IJLi2EEEENST_IJLi3EEEENST_IJLi4EEEENST_IJLi5EEEENST_IJLi6EEEENST_IJLi7EEEENST_IJLi8EEEENST_IJLi9EEEENST_IJLi10EEEENST_IJLi11ELi13ELi15ELi17EEEENST_IJLi12ELi14ELi16ELi18EEEENST_IJLi19EEEENST_IJLi20EEEENST_IJLi22EEEENST_IJLi21EEEEEEENS5_IJNST_IJLi1ELi2ELi3ELi4ELi5EEEES10_S11_S12_S13_S14_NST_IJLi11EEEENST_IJLi12ELi13EEEENST_IJLi14ELi15EEEENST_IJLi16ELi17EEEENST_IJLi18EEEES17_S18_S1A_S19_NST_IJLi23ELi24EEEENST_IJLi25EEEEEEENST_IJLi23ELi25ELi24EEEElEENSB_INS5_IJSR_SP_SP_SR_SG_EEENS5_IJSU_SV_SW_SY_SX_EEENS5_IJNST_IJLi1ELi2EEEESX_SY_NST_IJLi5ELi6EEEES11_EEENST_IJLi5ELi7ELi6EEEElEENSB_INS5_IJSK_SP_SP_EEENS5_IJSU_SV_SW_EEENS5_IJS1P_SX_SY_EEENST_IJLi3ELi4EEEElEELi128ELi128ELi16ELi2ELi4ELi4ELi1ENST_IJLi8ELi2EEEES1Z_NST_IJLi8ELi1ELi1ELi2EEEENST_IJLi2ELi1ELi128ELi1EEEENST_IJLi1ELi2ELi0ELi3EEEES22_NST_IJLi4ELi1ELi1ELi2EEEES22_NST_IJLi1ELi1ELi1ELi2EEEES20_S21_S22_S22_S23_S22_S24_NST_IJLi0ELi1ELi2ELi3ELi4ELi5EEEELi5ELi4EEEDF16_NS5_IJPKDF16_EEEDF16_S8_S8_S9_NSB_INS5_IJSE_SG_SI_SI_SI_SG_SG_SK_SK_SK_SG_SN_SN_SP_SP_SR_SG_SG_NSQ_INS5_IJiNS_17integral_constantIiLi128EEEEEELb0EEENSF_INS2A_IiLi2EEEEEEEENS5_IJSU_SV_SW_SX_SY_SZ_S10_S11_S12_S13_S14_S15_S16_S17_S18_S19_S1A_NST_IJLi23EEEES1J_NST_IJLi24EEEEEEENS5_IJS1C_S10_S11_S12_S13_S14_S1D_S1E_S1F_S1G_S1H_S17_S18_S1A_S19_S1I_S1J_NST_IJLi26EEEENST_IJLi27ELi28EEEENST_IJLi29EEEEEEENST_IJLi26ELi27ELi28ELi29EEEElEENSB_INS5_IJSR_SP_SP_SR_SG_SG_S2D_S2F_EEENS5_IJSU_SV_SW_SY_SX_SZ_S11_S10_EEENS5_IJS1P_SX_SY_S1Q_S11_S12_NST_IJLi9ELi10EEEES1D_EEENST_IJLi8ELi9ELi10ELi11EEEElEENS5_IJNSB_INS5_IJSK_SP_SP_NSQ_INS5_IJiS2E_NS2A_IiLi64EEEEEELb0EEES2Y_EEENS5_IJSU_SV_SW_SX_SY_EEENS5_IJS1P_SX_SY_NST_IJLi5ELi6ELi7EEEENST_IJLi8ELi9ELi10EEEEEEENST_IJLi5ELi6ELi7ELi8ELi9ELi10EEEElEEEEES35_NS_31BlockToCTileMap_M00_N00_M01_N01ILi128ELi128ES1Y_Lb0EEENS1_30ComputePtrOffsetOfStridedBatchILi1ELi1ELi1EvEELb1ELb0EEEvPKT0_S3D_T1_PT2_T3_T4_T5_iT6_T7_T8_T9_T10_T11_
    .private_segment_fixed_size: 0
    .sgpr_count:     83
    .sgpr_spill_count: 0
    .symbol:         _ZN2ck16tensor_operation6device12_GLOBAL__N_137kernel_grouped_conv_fwd_dl_multiple_dINS_32GridwiseGemmDlMultipleD_km_kn_mnILi256EDF16_fNS_5TupleIJDF16_EEEDF16_NS0_12element_wise11PassThroughES8_NS7_7AddReluELNS_25InMemoryDataOperationEnumE0ENS_16TensorDescriptorINS5_IJNS_5EmbedINS5_IJiiiiiEEESD_Lb0EEENS_11PassThroughIiEENS_3PadIiiiLb0EEESI_SI_SG_SG_NSC_INS5_IJiiEEESJ_Lb0EEESK_SK_SG_NS_23Merge_v2_magic_divisionINS5_IJiiiiEEEEESN_NS_8RightPadIiiLb0EEESP_NS_7UnMergeISJ_Lb0EEESG_EEENS5_IJNS_8SequenceIJLi0EEEENST_IJLi1EEEENST_IJLi2EEEENST_IJLi3EEEENST_IJLi4EEEENST_IJLi5EEEENST_IJLi6EEEENST_IJLi7EEEENST_IJLi8EEEENST_IJLi9EEEENST_IJLi10EEEENST_IJLi11ELi13ELi15ELi17EEEENST_IJLi12ELi14ELi16ELi18EEEENST_IJLi19EEEENST_IJLi20EEEENST_IJLi22EEEENST_IJLi21EEEEEEENS5_IJNST_IJLi1ELi2ELi3ELi4ELi5EEEES10_S11_S12_S13_S14_NST_IJLi11EEEENST_IJLi12ELi13EEEENST_IJLi14ELi15EEEENST_IJLi16ELi17EEEENST_IJLi18EEEES17_S18_S1A_S19_NST_IJLi23ELi24EEEENST_IJLi25EEEEEEENST_IJLi23ELi25ELi24EEEElEENSB_INS5_IJSR_SP_SP_SR_SG_EEENS5_IJSU_SV_SW_SY_SX_EEENS5_IJNST_IJLi1ELi2EEEESX_SY_NST_IJLi5ELi6EEEES11_EEENST_IJLi5ELi7ELi6EEEElEENSB_INS5_IJSK_SP_SP_EEENS5_IJSU_SV_SW_EEENS5_IJS1P_SX_SY_EEENST_IJLi3ELi4EEEElEELi128ELi128ELi16ELi2ELi4ELi4ELi1ENST_IJLi8ELi2EEEES1Z_NST_IJLi8ELi1ELi1ELi2EEEENST_IJLi2ELi1ELi128ELi1EEEENST_IJLi1ELi2ELi0ELi3EEEES22_NST_IJLi4ELi1ELi1ELi2EEEES22_NST_IJLi1ELi1ELi1ELi2EEEES20_S21_S22_S22_S23_S22_S24_NST_IJLi0ELi1ELi2ELi3ELi4ELi5EEEELi5ELi4EEEDF16_NS5_IJPKDF16_EEEDF16_S8_S8_S9_NSB_INS5_IJSE_SG_SI_SI_SI_SG_SG_SK_SK_SK_SG_SN_SN_SP_SP_SR_SG_SG_NSQ_INS5_IJiNS_17integral_constantIiLi128EEEEEELb0EEENSF_INS2A_IiLi2EEEEEEEENS5_IJSU_SV_SW_SX_SY_SZ_S10_S11_S12_S13_S14_S15_S16_S17_S18_S19_S1A_NST_IJLi23EEEES1J_NST_IJLi24EEEEEEENS5_IJS1C_S10_S11_S12_S13_S14_S1D_S1E_S1F_S1G_S1H_S17_S18_S1A_S19_S1I_S1J_NST_IJLi26EEEENST_IJLi27ELi28EEEENST_IJLi29EEEEEEENST_IJLi26ELi27ELi28ELi29EEEElEENSB_INS5_IJSR_SP_SP_SR_SG_SG_S2D_S2F_EEENS5_IJSU_SV_SW_SY_SX_SZ_S11_S10_EEENS5_IJS1P_SX_SY_S1Q_S11_S12_NST_IJLi9ELi10EEEES1D_EEENST_IJLi8ELi9ELi10ELi11EEEElEENS5_IJNSB_INS5_IJSK_SP_SP_NSQ_INS5_IJiS2E_NS2A_IiLi64EEEEEELb0EEES2Y_EEENS5_IJSU_SV_SW_SX_SY_EEENS5_IJS1P_SX_SY_NST_IJLi5ELi6ELi7EEEENST_IJLi8ELi9ELi10EEEEEEENST_IJLi5ELi6ELi7ELi8ELi9ELi10EEEElEEEEES35_NS_31BlockToCTileMap_M00_N00_M01_N01ILi128ELi128ES1Y_Lb0EEENS1_30ComputePtrOffsetOfStridedBatchILi1ELi1ELi1EvEELb1ELb0EEEvPKT0_S3D_T1_PT2_T3_T4_T5_iT6_T7_T8_T9_T10_T11_.kd
    .uniform_work_group_size: 1
    .uses_dynamic_stack: false
    .vgpr_count:     136
    .vgpr_spill_count: 0
    .wavefront_size: 64
  - .agpr_count:     0
    .args:
      - .actual_access:  read_only
        .address_space:  global
        .offset:         0
        .size:           8
        .value_kind:     global_buffer
      - .actual_access:  read_only
        .address_space:  global
        .offset:         8
        .size:           8
        .value_kind:     global_buffer
      - .address_space:  global
        .offset:         16
        .size:           8
        .value_kind:     global_buffer
      - .actual_access:  write_only
        .address_space:  global
        .offset:         24
        .size:           8
        .value_kind:     global_buffer
      - .offset:         32
        .size:           1
        .value_kind:     by_value
      - .offset:         33
        .size:           1
        .value_kind:     by_value
      - .offset:         34
        .size:           1
        .value_kind:     by_value
      - .offset:         36
        .size:           4
        .value_kind:     by_value
      - .offset:         40
        .size:           320
        .value_kind:     by_value
      - .offset:         360
        .size:           96
        .value_kind:     by_value
      - .offset:         456
        .size:           80
        .value_kind:     by_value
      - .offset:         536
        .size:           80
        .value_kind:     by_value
      - .offset:         616
        .size:           112
        .value_kind:     by_value
      - .offset:         728
        .size:           40
        .value_kind:     by_value
      - .offset:         768
        .size:           4
        .value_kind:     hidden_block_count_x
      - .offset:         772
        .size:           4
        .value_kind:     hidden_block_count_y
      - .offset:         776
        .size:           4
        .value_kind:     hidden_block_count_z
      - .offset:         780
        .size:           2
        .value_kind:     hidden_group_size_x
      - .offset:         782
        .size:           2
        .value_kind:     hidden_group_size_y
      - .offset:         784
        .size:           2
        .value_kind:     hidden_group_size_z
      - .offset:         786
        .size:           2
        .value_kind:     hidden_remainder_x
      - .offset:         788
        .size:           2
        .value_kind:     hidden_remainder_y
      - .offset:         790
        .size:           2
        .value_kind:     hidden_remainder_z
      - .offset:         808
        .size:           8
        .value_kind:     hidden_global_offset_x
      - .offset:         816
        .size:           8
        .value_kind:     hidden_global_offset_y
      - .offset:         824
        .size:           8
        .value_kind:     hidden_global_offset_z
      - .offset:         832
        .size:           2
        .value_kind:     hidden_grid_dims
    .group_segment_fixed_size: 32768
    .kernarg_segment_align: 8
    .kernarg_segment_size: 1024
    .language:       OpenCL C
    .language_version:
      - 2
      - 0
    .max_flat_workgroup_size: 256
    .name:           _ZN2ck16tensor_operation6device12_GLOBAL__N_137kernel_grouped_conv_fwd_dl_multiple_dINS_32GridwiseGemmDlMultipleD_km_kn_mnILi256EDF16_fNS_5TupleIJDF16_EEEDF16_NS0_12element_wise11PassThroughES8_NS7_7AddReluELNS_25InMemoryDataOperationEnumE0ENS_16TensorDescriptorINS5_IJNS_5EmbedINS5_IJiiiiiEEESD_Lb0EEENS_11PassThroughIiEENS_3PadIiiiLb0EEESI_SI_SG_SG_NSC_INS5_IJiiEEESJ_Lb0EEESK_SK_SG_NS_23Merge_v2_magic_divisionINS5_IJiiiiEEEEESN_NS_8RightPadIiiLb0EEESP_NS_7UnMergeISJ_Lb0EEESG_EEENS5_IJNS_8SequenceIJLi0EEEENST_IJLi1EEEENST_IJLi2EEEENST_IJLi3EEEENST_IJLi4EEEENST_IJLi5EEEENST_IJLi6EEEENST_IJLi7EEEENST_IJLi8EEEENST_IJLi9EEEENST_IJLi10EEEENST_IJLi11ELi13ELi15ELi17EEEENST_IJLi12ELi14ELi16ELi18EEEENST_IJLi19EEEENST_IJLi20EEEENST_IJLi22EEEENST_IJLi21EEEEEEENS5_IJNST_IJLi1ELi2ELi3ELi4ELi5EEEES10_S11_S12_S13_S14_NST_IJLi11EEEENST_IJLi12ELi13EEEENST_IJLi14ELi15EEEENST_IJLi16ELi17EEEENST_IJLi18EEEES17_S18_S1A_S19_NST_IJLi23ELi24EEEENST_IJLi25EEEEEEENST_IJLi23ELi25ELi24EEEElEENSB_INS5_IJSR_SP_SP_SR_SG_EEENS5_IJSU_SV_SW_SY_SX_EEENS5_IJNST_IJLi1ELi2EEEESX_SY_NST_IJLi5ELi6EEEES11_EEENST_IJLi5ELi7ELi6EEEElEENSB_INS5_IJSK_SP_SP_EEENS5_IJSU_SV_SW_EEENS5_IJS1P_SX_SY_EEENST_IJLi3ELi4EEEElEELi128ELi128ELi16ELi2ELi4ELi4ELi1ENST_IJLi8ELi2EEEES1Z_NST_IJLi8ELi1ELi1ELi2EEEENST_IJLi2ELi1ELi128ELi1EEEENST_IJLi1ELi2ELi0ELi3EEEES22_NST_IJLi4ELi1ELi1ELi2EEEES22_NST_IJLi1ELi1ELi1ELi2EEEES20_S21_S22_S22_S23_S22_S24_NST_IJLi0ELi1ELi2ELi3ELi4ELi5EEEELi5ELi4EEEDF16_NS5_IJPKDF16_EEEDF16_S8_S8_S9_NSB_INS5_IJSE_SG_SI_SI_SI_SG_SG_SK_SK_SK_SG_SN_SN_SP_SP_SR_SG_SG_NSQ_INS5_IJiNS_17integral_constantIiLi128EEEEEELb0EEENSF_INS2A_IiLi2EEEEEEEENS5_IJSU_SV_SW_SX_SY_SZ_S10_S11_S12_S13_S14_S15_S16_S17_S18_S19_S1A_NST_IJLi23EEEES1J_NST_IJLi24EEEEEEENS5_IJS1C_S10_S11_S12_S13_S14_S1D_S1E_S1F_S1G_S1H_S17_S18_S1A_S19_S1I_S1J_NST_IJLi26EEEENST_IJLi27ELi28EEEENST_IJLi29EEEEEEENST_IJLi26ELi27ELi28ELi29EEEElEENSB_INS5_IJSR_SP_SP_SR_SG_SG_S2D_S2F_EEENS5_IJSU_SV_SW_SY_SX_SZ_S11_S10_EEENS5_IJS1P_SX_SY_S1Q_S11_S12_NST_IJLi9ELi10EEEES1D_EEENST_IJLi8ELi9ELi10ELi11EEEElEENS5_IJNSB_INS5_IJSK_SP_SP_NSQ_INS5_IJiS2E_NS2A_IiLi64EEEEEELb0EEES2Y_EEENS5_IJSU_SV_SW_SX_SY_EEENS5_IJS1P_SX_SY_NST_IJLi5ELi6ELi7EEEENST_IJLi8ELi9ELi10EEEEEEENST_IJLi5ELi6ELi7ELi8ELi9ELi10EEEElEEEEES35_NS_31BlockToCTileMap_M00_N00_M01_N01ILi128ELi128ES1Y_Lb0EEENS1_30ComputePtrOffsetOfStridedBatchILi1ELi1ELi1EvEELb0ELb1EEEvPKT0_S3D_T1_PT2_T3_T4_T5_iT6_T7_T8_T9_T10_T11_
    .private_segment_fixed_size: 0
    .sgpr_count:     89
    .sgpr_spill_count: 0
    .symbol:         _ZN2ck16tensor_operation6device12_GLOBAL__N_137kernel_grouped_conv_fwd_dl_multiple_dINS_32GridwiseGemmDlMultipleD_km_kn_mnILi256EDF16_fNS_5TupleIJDF16_EEEDF16_NS0_12element_wise11PassThroughES8_NS7_7AddReluELNS_25InMemoryDataOperationEnumE0ENS_16TensorDescriptorINS5_IJNS_5EmbedINS5_IJiiiiiEEESD_Lb0EEENS_11PassThroughIiEENS_3PadIiiiLb0EEESI_SI_SG_SG_NSC_INS5_IJiiEEESJ_Lb0EEESK_SK_SG_NS_23Merge_v2_magic_divisionINS5_IJiiiiEEEEESN_NS_8RightPadIiiLb0EEESP_NS_7UnMergeISJ_Lb0EEESG_EEENS5_IJNS_8SequenceIJLi0EEEENST_IJLi1EEEENST_IJLi2EEEENST_IJLi3EEEENST_IJLi4EEEENST_IJLi5EEEENST_IJLi6EEEENST_IJLi7EEEENST_IJLi8EEEENST_IJLi9EEEENST_IJLi10EEEENST_IJLi11ELi13ELi15ELi17EEEENST_IJLi12ELi14ELi16ELi18EEEENST_IJLi19EEEENST_IJLi20EEEENST_IJLi22EEEENST_IJLi21EEEEEEENS5_IJNST_IJLi1ELi2ELi3ELi4ELi5EEEES10_S11_S12_S13_S14_NST_IJLi11EEEENST_IJLi12ELi13EEEENST_IJLi14ELi15EEEENST_IJLi16ELi17EEEENST_IJLi18EEEES17_S18_S1A_S19_NST_IJLi23ELi24EEEENST_IJLi25EEEEEEENST_IJLi23ELi25ELi24EEEElEENSB_INS5_IJSR_SP_SP_SR_SG_EEENS5_IJSU_SV_SW_SY_SX_EEENS5_IJNST_IJLi1ELi2EEEESX_SY_NST_IJLi5ELi6EEEES11_EEENST_IJLi5ELi7ELi6EEEElEENSB_INS5_IJSK_SP_SP_EEENS5_IJSU_SV_SW_EEENS5_IJS1P_SX_SY_EEENST_IJLi3ELi4EEEElEELi128ELi128ELi16ELi2ELi4ELi4ELi1ENST_IJLi8ELi2EEEES1Z_NST_IJLi8ELi1ELi1ELi2EEEENST_IJLi2ELi1ELi128ELi1EEEENST_IJLi1ELi2ELi0ELi3EEEES22_NST_IJLi4ELi1ELi1ELi2EEEES22_NST_IJLi1ELi1ELi1ELi2EEEES20_S21_S22_S22_S23_S22_S24_NST_IJLi0ELi1ELi2ELi3ELi4ELi5EEEELi5ELi4EEEDF16_NS5_IJPKDF16_EEEDF16_S8_S8_S9_NSB_INS5_IJSE_SG_SI_SI_SI_SG_SG_SK_SK_SK_SG_SN_SN_SP_SP_SR_SG_SG_NSQ_INS5_IJiNS_17integral_constantIiLi128EEEEEELb0EEENSF_INS2A_IiLi2EEEEEEEENS5_IJSU_SV_SW_SX_SY_SZ_S10_S11_S12_S13_S14_S15_S16_S17_S18_S19_S1A_NST_IJLi23EEEES1J_NST_IJLi24EEEEEEENS5_IJS1C_S10_S11_S12_S13_S14_S1D_S1E_S1F_S1G_S1H_S17_S18_S1A_S19_S1I_S1J_NST_IJLi26EEEENST_IJLi27ELi28EEEENST_IJLi29EEEEEEENST_IJLi26ELi27ELi28ELi29EEEElEENSB_INS5_IJSR_SP_SP_SR_SG_SG_S2D_S2F_EEENS5_IJSU_SV_SW_SY_SX_SZ_S11_S10_EEENS5_IJS1P_SX_SY_S1Q_S11_S12_NST_IJLi9ELi10EEEES1D_EEENST_IJLi8ELi9ELi10ELi11EEEElEENS5_IJNSB_INS5_IJSK_SP_SP_NSQ_INS5_IJiS2E_NS2A_IiLi64EEEEEELb0EEES2Y_EEENS5_IJSU_SV_SW_SX_SY_EEENS5_IJS1P_SX_SY_NST_IJLi5ELi6ELi7EEEENST_IJLi8ELi9ELi10EEEEEEENST_IJLi5ELi6ELi7ELi8ELi9ELi10EEEElEEEEES35_NS_31BlockToCTileMap_M00_N00_M01_N01ILi128ELi128ES1Y_Lb0EEENS1_30ComputePtrOffsetOfStridedBatchILi1ELi1ELi1EvEELb0ELb1EEEvPKT0_S3D_T1_PT2_T3_T4_T5_iT6_T7_T8_T9_T10_T11_.kd
    .uniform_work_group_size: 1
    .uses_dynamic_stack: false
    .vgpr_count:     117
    .vgpr_spill_count: 0
    .wavefront_size: 64
  - .agpr_count:     0
    .args:
      - .actual_access:  read_only
        .address_space:  global
        .offset:         0
        .size:           8
        .value_kind:     global_buffer
      - .actual_access:  read_only
        .address_space:  global
        .offset:         8
        .size:           8
        .value_kind:     global_buffer
      - .address_space:  global
        .offset:         16
        .size:           8
        .value_kind:     global_buffer
      - .actual_access:  write_only
        .address_space:  global
        .offset:         24
        .size:           8
        .value_kind:     global_buffer
      - .offset:         32
        .size:           1
        .value_kind:     by_value
      - .offset:         33
        .size:           1
        .value_kind:     by_value
      - .offset:         34
        .size:           1
        .value_kind:     by_value
      - .offset:         36
        .size:           4
        .value_kind:     by_value
      - .offset:         40
        .size:           320
        .value_kind:     by_value
      - .offset:         360
        .size:           96
        .value_kind:     by_value
      - .offset:         456
        .size:           80
        .value_kind:     by_value
      - .offset:         536
        .size:           80
        .value_kind:     by_value
      - .offset:         616
        .size:           112
        .value_kind:     by_value
      - .offset:         728
        .size:           40
        .value_kind:     by_value
      - .offset:         768
        .size:           4
        .value_kind:     hidden_block_count_x
      - .offset:         772
        .size:           4
        .value_kind:     hidden_block_count_y
      - .offset:         776
        .size:           4
        .value_kind:     hidden_block_count_z
      - .offset:         780
        .size:           2
        .value_kind:     hidden_group_size_x
      - .offset:         782
        .size:           2
        .value_kind:     hidden_group_size_y
      - .offset:         784
        .size:           2
        .value_kind:     hidden_group_size_z
      - .offset:         786
        .size:           2
        .value_kind:     hidden_remainder_x
      - .offset:         788
        .size:           2
        .value_kind:     hidden_remainder_y
      - .offset:         790
        .size:           2
        .value_kind:     hidden_remainder_z
      - .offset:         808
        .size:           8
        .value_kind:     hidden_global_offset_x
      - .offset:         816
        .size:           8
        .value_kind:     hidden_global_offset_y
      - .offset:         824
        .size:           8
        .value_kind:     hidden_global_offset_z
      - .offset:         832
        .size:           2
        .value_kind:     hidden_grid_dims
    .group_segment_fixed_size: 32768
    .kernarg_segment_align: 8
    .kernarg_segment_size: 1024
    .language:       OpenCL C
    .language_version:
      - 2
      - 0
    .max_flat_workgroup_size: 256
    .name:           _ZN2ck16tensor_operation6device12_GLOBAL__N_137kernel_grouped_conv_fwd_dl_multiple_dINS_32GridwiseGemmDlMultipleD_km_kn_mnILi256EDF16_fNS_5TupleIJDF16_EEEDF16_NS0_12element_wise11PassThroughES8_NS7_7AddReluELNS_25InMemoryDataOperationEnumE0ENS_16TensorDescriptorINS5_IJNS_5EmbedINS5_IJiiiiiEEESD_Lb0EEENS_11PassThroughIiEENS_3PadIiiiLb0EEESI_SI_SG_SG_NSC_INS5_IJiiEEESJ_Lb0EEESK_SK_SG_NS_23Merge_v2_magic_divisionINS5_IJiiiiEEEEESN_NS_8RightPadIiiLb0EEESP_NS_7UnMergeISJ_Lb0EEESG_EEENS5_IJNS_8SequenceIJLi0EEEENST_IJLi1EEEENST_IJLi2EEEENST_IJLi3EEEENST_IJLi4EEEENST_IJLi5EEEENST_IJLi6EEEENST_IJLi7EEEENST_IJLi8EEEENST_IJLi9EEEENST_IJLi10EEEENST_IJLi11ELi13ELi15ELi17EEEENST_IJLi12ELi14ELi16ELi18EEEENST_IJLi19EEEENST_IJLi20EEEENST_IJLi22EEEENST_IJLi21EEEEEEENS5_IJNST_IJLi1ELi2ELi3ELi4ELi5EEEES10_S11_S12_S13_S14_NST_IJLi11EEEENST_IJLi12ELi13EEEENST_IJLi14ELi15EEEENST_IJLi16ELi17EEEENST_IJLi18EEEES17_S18_S1A_S19_NST_IJLi23ELi24EEEENST_IJLi25EEEEEEENST_IJLi23ELi25ELi24EEEElEENSB_INS5_IJSR_SP_SP_SR_SG_EEENS5_IJSU_SV_SW_SY_SX_EEENS5_IJNST_IJLi1ELi2EEEESX_SY_NST_IJLi5ELi6EEEES11_EEENST_IJLi5ELi7ELi6EEEElEENSB_INS5_IJSK_SP_SP_EEENS5_IJSU_SV_SW_EEENS5_IJS1P_SX_SY_EEENST_IJLi3ELi4EEEElEELi128ELi128ELi16ELi2ELi4ELi4ELi1ENST_IJLi8ELi2EEEES1Z_NST_IJLi8ELi1ELi1ELi2EEEENST_IJLi2ELi1ELi128ELi1EEEENST_IJLi1ELi2ELi0ELi3EEEES22_NST_IJLi4ELi1ELi1ELi2EEEES22_NST_IJLi1ELi1ELi1ELi2EEEES20_S21_S22_S22_S23_S22_S24_NST_IJLi0ELi1ELi2ELi3ELi4ELi5EEEELi5ELi4EEEDF16_NS5_IJPKDF16_EEEDF16_S8_S8_S9_NSB_INS5_IJSE_SG_SI_SI_SI_SG_SG_SK_SK_SK_SG_SN_SN_SP_SP_SR_SG_SG_NSQ_INS5_IJiNS_17integral_constantIiLi128EEEEEELb0EEENSF_INS2A_IiLi2EEEEEEEENS5_IJSU_SV_SW_SX_SY_SZ_S10_S11_S12_S13_S14_S15_S16_S17_S18_S19_S1A_NST_IJLi23EEEES1J_NST_IJLi24EEEEEEENS5_IJS1C_S10_S11_S12_S13_S14_S1D_S1E_S1F_S1G_S1H_S17_S18_S1A_S19_S1I_S1J_NST_IJLi26EEEENST_IJLi27ELi28EEEENST_IJLi29EEEEEEENST_IJLi26ELi27ELi28ELi29EEEElEENSB_INS5_IJSR_SP_SP_SR_SG_SG_S2D_S2F_EEENS5_IJSU_SV_SW_SY_SX_SZ_S11_S10_EEENS5_IJS1P_SX_SY_S1Q_S11_S12_NST_IJLi9ELi10EEEES1D_EEENST_IJLi8ELi9ELi10ELi11EEEElEENS5_IJNSB_INS5_IJSK_SP_SP_NSQ_INS5_IJiS2E_NS2A_IiLi64EEEEEELb0EEES2Y_EEENS5_IJSU_SV_SW_SX_SY_EEENS5_IJS1P_SX_SY_NST_IJLi5ELi6ELi7EEEENST_IJLi8ELi9ELi10EEEEEEENST_IJLi5ELi6ELi7ELi8ELi9ELi10EEEElEEEEES35_NS_31BlockToCTileMap_M00_N00_M01_N01ILi128ELi128ES1Y_Lb0EEENS1_30ComputePtrOffsetOfStridedBatchILi1ELi1ELi1EvEELb0ELb0EEEvPKT0_S3D_T1_PT2_T3_T4_T5_iT6_T7_T8_T9_T10_T11_
    .private_segment_fixed_size: 0
    .sgpr_count:     90
    .sgpr_spill_count: 0
    .symbol:         _ZN2ck16tensor_operation6device12_GLOBAL__N_137kernel_grouped_conv_fwd_dl_multiple_dINS_32GridwiseGemmDlMultipleD_km_kn_mnILi256EDF16_fNS_5TupleIJDF16_EEEDF16_NS0_12element_wise11PassThroughES8_NS7_7AddReluELNS_25InMemoryDataOperationEnumE0ENS_16TensorDescriptorINS5_IJNS_5EmbedINS5_IJiiiiiEEESD_Lb0EEENS_11PassThroughIiEENS_3PadIiiiLb0EEESI_SI_SG_SG_NSC_INS5_IJiiEEESJ_Lb0EEESK_SK_SG_NS_23Merge_v2_magic_divisionINS5_IJiiiiEEEEESN_NS_8RightPadIiiLb0EEESP_NS_7UnMergeISJ_Lb0EEESG_EEENS5_IJNS_8SequenceIJLi0EEEENST_IJLi1EEEENST_IJLi2EEEENST_IJLi3EEEENST_IJLi4EEEENST_IJLi5EEEENST_IJLi6EEEENST_IJLi7EEEENST_IJLi8EEEENST_IJLi9EEEENST_IJLi10EEEENST_IJLi11ELi13ELi15ELi17EEEENST_IJLi12ELi14ELi16ELi18EEEENST_IJLi19EEEENST_IJLi20EEEENST_IJLi22EEEENST_IJLi21EEEEEEENS5_IJNST_IJLi1ELi2ELi3ELi4ELi5EEEES10_S11_S12_S13_S14_NST_IJLi11EEEENST_IJLi12ELi13EEEENST_IJLi14ELi15EEEENST_IJLi16ELi17EEEENST_IJLi18EEEES17_S18_S1A_S19_NST_IJLi23ELi24EEEENST_IJLi25EEEEEEENST_IJLi23ELi25ELi24EEEElEENSB_INS5_IJSR_SP_SP_SR_SG_EEENS5_IJSU_SV_SW_SY_SX_EEENS5_IJNST_IJLi1ELi2EEEESX_SY_NST_IJLi5ELi6EEEES11_EEENST_IJLi5ELi7ELi6EEEElEENSB_INS5_IJSK_SP_SP_EEENS5_IJSU_SV_SW_EEENS5_IJS1P_SX_SY_EEENST_IJLi3ELi4EEEElEELi128ELi128ELi16ELi2ELi4ELi4ELi1ENST_IJLi8ELi2EEEES1Z_NST_IJLi8ELi1ELi1ELi2EEEENST_IJLi2ELi1ELi128ELi1EEEENST_IJLi1ELi2ELi0ELi3EEEES22_NST_IJLi4ELi1ELi1ELi2EEEES22_NST_IJLi1ELi1ELi1ELi2EEEES20_S21_S22_S22_S23_S22_S24_NST_IJLi0ELi1ELi2ELi3ELi4ELi5EEEELi5ELi4EEEDF16_NS5_IJPKDF16_EEEDF16_S8_S8_S9_NSB_INS5_IJSE_SG_SI_SI_SI_SG_SG_SK_SK_SK_SG_SN_SN_SP_SP_SR_SG_SG_NSQ_INS5_IJiNS_17integral_constantIiLi128EEEEEELb0EEENSF_INS2A_IiLi2EEEEEEEENS5_IJSU_SV_SW_SX_SY_SZ_S10_S11_S12_S13_S14_S15_S16_S17_S18_S19_S1A_NST_IJLi23EEEES1J_NST_IJLi24EEEEEEENS5_IJS1C_S10_S11_S12_S13_S14_S1D_S1E_S1F_S1G_S1H_S17_S18_S1A_S19_S1I_S1J_NST_IJLi26EEEENST_IJLi27ELi28EEEENST_IJLi29EEEEEEENST_IJLi26ELi27ELi28ELi29EEEElEENSB_INS5_IJSR_SP_SP_SR_SG_SG_S2D_S2F_EEENS5_IJSU_SV_SW_SY_SX_SZ_S11_S10_EEENS5_IJS1P_SX_SY_S1Q_S11_S12_NST_IJLi9ELi10EEEES1D_EEENST_IJLi8ELi9ELi10ELi11EEEElEENS5_IJNSB_INS5_IJSK_SP_SP_NSQ_INS5_IJiS2E_NS2A_IiLi64EEEEEELb0EEES2Y_EEENS5_IJSU_SV_SW_SX_SY_EEENS5_IJS1P_SX_SY_NST_IJLi5ELi6ELi7EEEENST_IJLi8ELi9ELi10EEEEEEENST_IJLi5ELi6ELi7ELi8ELi9ELi10EEEElEEEEES35_NS_31BlockToCTileMap_M00_N00_M01_N01ILi128ELi128ES1Y_Lb0EEENS1_30ComputePtrOffsetOfStridedBatchILi1ELi1ELi1EvEELb0ELb0EEEvPKT0_S3D_T1_PT2_T3_T4_T5_iT6_T7_T8_T9_T10_T11_.kd
    .uniform_work_group_size: 1
    .uses_dynamic_stack: false
    .vgpr_count:     94
    .vgpr_spill_count: 0
    .wavefront_size: 64
amdhsa.target:   amdgcn-amd-amdhsa--gfx950
amdhsa.version:
  - 1
  - 2
...

	.end_amdgpu_metadata
